;; amdgpu-corpus repo=ROCm/rocFFT kind=compiled arch=gfx906 opt=O3
	.text
	.amdgcn_target "amdgcn-amd-amdhsa--gfx906"
	.amdhsa_code_object_version 6
	.protected	fft_rtc_back_len1700_factors_17_10_10_wgs_170_tpt_170_halfLds_dp_op_CI_CI_sbrr_dirReg ; -- Begin function fft_rtc_back_len1700_factors_17_10_10_wgs_170_tpt_170_halfLds_dp_op_CI_CI_sbrr_dirReg
	.globl	fft_rtc_back_len1700_factors_17_10_10_wgs_170_tpt_170_halfLds_dp_op_CI_CI_sbrr_dirReg
	.p2align	8
	.type	fft_rtc_back_len1700_factors_17_10_10_wgs_170_tpt_170_halfLds_dp_op_CI_CI_sbrr_dirReg,@function
fft_rtc_back_len1700_factors_17_10_10_wgs_170_tpt_170_halfLds_dp_op_CI_CI_sbrr_dirReg: ; @fft_rtc_back_len1700_factors_17_10_10_wgs_170_tpt_170_halfLds_dp_op_CI_CI_sbrr_dirReg
; %bb.0:
	s_load_dwordx4 s[16:19], s[4:5], 0x18
	s_load_dwordx4 s[12:15], s[4:5], 0x0
	;; [unrolled: 1-line block ×3, first 2 shown]
	v_mul_u32_u24_e32 v1, 0x182, v0
	v_add_u32_sdwa v3, s6, v1 dst_sel:DWORD dst_unused:UNUSED_PAD src0_sel:DWORD src1_sel:WORD_1
	s_waitcnt lgkmcnt(0)
	s_load_dwordx2 s[20:21], s[16:17], 0x0
	s_load_dwordx2 s[2:3], s[18:19], 0x0
	v_cmp_lt_u64_e64 s[0:1], s[14:15], 2
	v_mov_b32_e32 v1, 0
	v_mov_b32_e32 v68, 0
	;; [unrolled: 1-line block ×3, first 2 shown]
	s_and_b64 vcc, exec, s[0:1]
	v_mov_b32_e32 v69, 0
	s_cbranch_vccnz .LBB0_8
; %bb.1:
	s_load_dwordx2 s[0:1], s[4:5], 0x10
	s_add_u32 s6, s18, 8
	s_addc_u32 s7, s19, 0
	s_add_u32 s22, s16, 8
	v_mov_b32_e32 v68, 0
	s_addc_u32 s23, s17, 0
	v_mov_b32_e32 v69, 0
	s_waitcnt lgkmcnt(0)
	s_add_u32 s24, s0, 8
	v_mov_b32_e32 v89, v69
	s_addc_u32 s25, s1, 0
	s_mov_b64 s[26:27], 1
	v_mov_b32_e32 v88, v68
.LBB0_2:                                ; =>This Inner Loop Header: Depth=1
	s_load_dwordx2 s[28:29], s[24:25], 0x0
                                        ; implicit-def: $vgpr90_vgpr91
	s_waitcnt lgkmcnt(0)
	v_or_b32_e32 v2, s29, v4
	v_cmp_ne_u64_e32 vcc, 0, v[1:2]
	s_and_saveexec_b64 s[0:1], vcc
	s_xor_b64 s[30:31], exec, s[0:1]
	s_cbranch_execz .LBB0_4
; %bb.3:                                ;   in Loop: Header=BB0_2 Depth=1
	v_cvt_f32_u32_e32 v2, s28
	v_cvt_f32_u32_e32 v5, s29
	s_sub_u32 s0, 0, s28
	s_subb_u32 s1, 0, s29
	v_mac_f32_e32 v2, 0x4f800000, v5
	v_rcp_f32_e32 v2, v2
	v_mul_f32_e32 v2, 0x5f7ffffc, v2
	v_mul_f32_e32 v5, 0x2f800000, v2
	v_trunc_f32_e32 v5, v5
	v_mac_f32_e32 v2, 0xcf800000, v5
	v_cvt_u32_f32_e32 v5, v5
	v_cvt_u32_f32_e32 v2, v2
	v_mul_lo_u32 v6, s0, v5
	v_mul_hi_u32 v7, s0, v2
	v_mul_lo_u32 v9, s1, v2
	v_mul_lo_u32 v8, s0, v2
	v_add_u32_e32 v6, v7, v6
	v_add_u32_e32 v6, v6, v9
	v_mul_hi_u32 v7, v2, v8
	v_mul_lo_u32 v9, v2, v6
	v_mul_hi_u32 v11, v2, v6
	v_mul_hi_u32 v10, v5, v8
	v_mul_lo_u32 v8, v5, v8
	v_mul_hi_u32 v12, v5, v6
	v_add_co_u32_e32 v7, vcc, v7, v9
	v_addc_co_u32_e32 v9, vcc, 0, v11, vcc
	v_mul_lo_u32 v6, v5, v6
	v_add_co_u32_e32 v7, vcc, v7, v8
	v_addc_co_u32_e32 v7, vcc, v9, v10, vcc
	v_addc_co_u32_e32 v8, vcc, 0, v12, vcc
	v_add_co_u32_e32 v6, vcc, v7, v6
	v_addc_co_u32_e32 v7, vcc, 0, v8, vcc
	v_add_co_u32_e32 v2, vcc, v2, v6
	v_addc_co_u32_e32 v5, vcc, v5, v7, vcc
	v_mul_lo_u32 v6, s0, v5
	v_mul_hi_u32 v7, s0, v2
	v_mul_lo_u32 v8, s1, v2
	v_mul_lo_u32 v9, s0, v2
	v_add_u32_e32 v6, v7, v6
	v_add_u32_e32 v6, v6, v8
	v_mul_lo_u32 v10, v2, v6
	v_mul_hi_u32 v11, v2, v9
	v_mul_hi_u32 v12, v2, v6
	;; [unrolled: 1-line block ×3, first 2 shown]
	v_mul_lo_u32 v9, v5, v9
	v_mul_hi_u32 v7, v5, v6
	v_add_co_u32_e32 v10, vcc, v11, v10
	v_addc_co_u32_e32 v11, vcc, 0, v12, vcc
	v_mul_lo_u32 v6, v5, v6
	v_add_co_u32_e32 v9, vcc, v10, v9
	v_addc_co_u32_e32 v8, vcc, v11, v8, vcc
	v_addc_co_u32_e32 v7, vcc, 0, v7, vcc
	v_add_co_u32_e32 v6, vcc, v8, v6
	v_addc_co_u32_e32 v7, vcc, 0, v7, vcc
	v_add_co_u32_e32 v2, vcc, v2, v6
	v_addc_co_u32_e32 v7, vcc, v5, v7, vcc
	v_mad_u64_u32 v[5:6], s[0:1], v3, v7, 0
	v_mul_hi_u32 v8, v3, v2
	v_add_co_u32_e32 v9, vcc, v8, v5
	v_addc_co_u32_e32 v10, vcc, 0, v6, vcc
	v_mad_u64_u32 v[5:6], s[0:1], v4, v2, 0
	v_mad_u64_u32 v[7:8], s[0:1], v4, v7, 0
	v_add_co_u32_e32 v2, vcc, v9, v5
	v_addc_co_u32_e32 v2, vcc, v10, v6, vcc
	v_addc_co_u32_e32 v5, vcc, 0, v8, vcc
	v_add_co_u32_e32 v2, vcc, v2, v7
	v_addc_co_u32_e32 v7, vcc, 0, v5, vcc
	v_mul_lo_u32 v8, s29, v2
	v_mul_lo_u32 v9, s28, v7
	v_mad_u64_u32 v[5:6], s[0:1], s28, v2, 0
	v_add3_u32 v6, v6, v9, v8
	v_sub_u32_e32 v8, v4, v6
	v_mov_b32_e32 v9, s29
	v_sub_co_u32_e32 v5, vcc, v3, v5
	v_subb_co_u32_e64 v8, s[0:1], v8, v9, vcc
	v_subrev_co_u32_e64 v9, s[0:1], s28, v5
	v_subbrev_co_u32_e64 v8, s[0:1], 0, v8, s[0:1]
	v_cmp_le_u32_e64 s[0:1], s29, v8
	v_cndmask_b32_e64 v10, 0, -1, s[0:1]
	v_cmp_le_u32_e64 s[0:1], s28, v9
	v_cndmask_b32_e64 v9, 0, -1, s[0:1]
	v_cmp_eq_u32_e64 s[0:1], s29, v8
	v_cndmask_b32_e64 v8, v10, v9, s[0:1]
	v_add_co_u32_e64 v9, s[0:1], 2, v2
	v_addc_co_u32_e64 v10, s[0:1], 0, v7, s[0:1]
	v_add_co_u32_e64 v11, s[0:1], 1, v2
	v_addc_co_u32_e64 v12, s[0:1], 0, v7, s[0:1]
	v_subb_co_u32_e32 v6, vcc, v4, v6, vcc
	v_cmp_ne_u32_e64 s[0:1], 0, v8
	v_cmp_le_u32_e32 vcc, s29, v6
	v_cndmask_b32_e64 v8, v12, v10, s[0:1]
	v_cndmask_b32_e64 v10, 0, -1, vcc
	v_cmp_le_u32_e32 vcc, s28, v5
	v_cndmask_b32_e64 v5, 0, -1, vcc
	v_cmp_eq_u32_e32 vcc, s29, v6
	v_cndmask_b32_e32 v5, v10, v5, vcc
	v_cmp_ne_u32_e32 vcc, 0, v5
	v_cndmask_b32_e64 v5, v11, v9, s[0:1]
	v_cndmask_b32_e32 v91, v7, v8, vcc
	v_cndmask_b32_e32 v90, v2, v5, vcc
.LBB0_4:                                ;   in Loop: Header=BB0_2 Depth=1
	s_andn2_saveexec_b64 s[0:1], s[30:31]
	s_cbranch_execz .LBB0_6
; %bb.5:                                ;   in Loop: Header=BB0_2 Depth=1
	v_cvt_f32_u32_e32 v2, s28
	s_sub_i32 s30, 0, s28
	v_mov_b32_e32 v91, v1
	v_rcp_iflag_f32_e32 v2, v2
	v_mul_f32_e32 v2, 0x4f7ffffe, v2
	v_cvt_u32_f32_e32 v2, v2
	v_mul_lo_u32 v5, s30, v2
	v_mul_hi_u32 v5, v2, v5
	v_add_u32_e32 v2, v2, v5
	v_mul_hi_u32 v2, v3, v2
	v_mul_lo_u32 v5, v2, s28
	v_add_u32_e32 v6, 1, v2
	v_sub_u32_e32 v5, v3, v5
	v_subrev_u32_e32 v7, s28, v5
	v_cmp_le_u32_e32 vcc, s28, v5
	v_cndmask_b32_e32 v5, v5, v7, vcc
	v_cndmask_b32_e32 v2, v2, v6, vcc
	v_add_u32_e32 v6, 1, v2
	v_cmp_le_u32_e32 vcc, s28, v5
	v_cndmask_b32_e32 v90, v2, v6, vcc
.LBB0_6:                                ;   in Loop: Header=BB0_2 Depth=1
	s_or_b64 exec, exec, s[0:1]
	v_mul_lo_u32 v2, v91, s28
	v_mul_lo_u32 v7, v90, s29
	v_mad_u64_u32 v[5:6], s[0:1], v90, s28, 0
	s_load_dwordx2 s[0:1], s[22:23], 0x0
	s_load_dwordx2 s[28:29], s[6:7], 0x0
	v_add3_u32 v2, v6, v7, v2
	v_sub_co_u32_e32 v3, vcc, v3, v5
	v_subb_co_u32_e32 v2, vcc, v4, v2, vcc
	s_waitcnt lgkmcnt(0)
	v_mul_lo_u32 v4, s0, v2
	v_mul_lo_u32 v5, s1, v3
	v_mad_u64_u32 v[68:69], s[0:1], s0, v3, v[68:69]
	v_mul_lo_u32 v2, s28, v2
	v_mul_lo_u32 v6, s29, v3
	v_mad_u64_u32 v[88:89], s[0:1], s28, v3, v[88:89]
	s_add_u32 s26, s26, 1
	s_addc_u32 s27, s27, 0
	s_add_u32 s6, s6, 8
	v_add3_u32 v89, v6, v89, v2
	s_addc_u32 s7, s7, 0
	v_mov_b32_e32 v2, s14
	s_add_u32 s22, s22, 8
	v_mov_b32_e32 v3, s15
	s_addc_u32 s23, s23, 0
	v_cmp_ge_u64_e32 vcc, s[26:27], v[2:3]
	s_add_u32 s24, s24, 8
	v_add3_u32 v69, v5, v69, v4
	s_addc_u32 s25, s25, 0
	s_cbranch_vccnz .LBB0_9
; %bb.7:                                ;   in Loop: Header=BB0_2 Depth=1
	v_mov_b32_e32 v3, v90
	v_mov_b32_e32 v4, v91
	s_branch .LBB0_2
.LBB0_8:
	v_mov_b32_e32 v89, v69
	v_mov_b32_e32 v91, v4
	;; [unrolled: 1-line block ×4, first 2 shown]
.LBB0_9:
	s_lshl_b64 s[22:23], s[14:15], 3
	s_load_dwordx2 s[0:1], s[4:5], 0x28
	s_add_u32 s4, s18, s22
	s_mov_b32 s5, 0x1818182
	v_mul_hi_u32 v1, v0, s5
	s_addc_u32 s5, s19, s23
	s_load_dwordx2 s[4:5], s[4:5], 0x0
	s_waitcnt lgkmcnt(0)
	v_cmp_gt_u64_e32 vcc, s[0:1], v[90:91]
	v_mul_u32_u24_e32 v1, 0xaa, v1
	v_sub_u32_e32 v101, v0, v1
	v_mov_b32_e32 v100, 0
                                        ; implicit-def: $vgpr54_vgpr55
                                        ; implicit-def: $vgpr58_vgpr59
                                        ; implicit-def: $vgpr46_vgpr47
                                        ; implicit-def: $vgpr38_vgpr39
                                        ; implicit-def: $vgpr30_vgpr31
                                        ; implicit-def: $vgpr22_vgpr23
                                        ; implicit-def: $vgpr14_vgpr15
                                        ; implicit-def: $vgpr6_vgpr7
                                        ; implicit-def: $vgpr2_vgpr3
                                        ; implicit-def: $vgpr10_vgpr11
                                        ; implicit-def: $vgpr18_vgpr19
                                        ; implicit-def: $vgpr26_vgpr27
                                        ; implicit-def: $vgpr34_vgpr35
                                        ; implicit-def: $vgpr42_vgpr43
                                        ; implicit-def: $vgpr62_vgpr63
                                        ; implicit-def: $vgpr66_vgpr67
                                        ; implicit-def: $vgpr50_vgpr51
	s_and_saveexec_b64 s[6:7], vcc
	s_cbranch_execz .LBB0_13
; %bb.10:
	s_movk_i32 s0, 0x64
	v_cmp_gt_u32_e64 s[0:1], s0, v101
                                        ; implicit-def: $vgpr48_vgpr49
                                        ; implicit-def: $vgpr64_vgpr65
                                        ; implicit-def: $vgpr60_vgpr61
                                        ; implicit-def: $vgpr40_vgpr41
                                        ; implicit-def: $vgpr32_vgpr33
                                        ; implicit-def: $vgpr24_vgpr25
                                        ; implicit-def: $vgpr16_vgpr17
                                        ; implicit-def: $vgpr8_vgpr9
                                        ; implicit-def: $vgpr0_vgpr1
                                        ; implicit-def: $vgpr4_vgpr5
                                        ; implicit-def: $vgpr12_vgpr13
                                        ; implicit-def: $vgpr20_vgpr21
                                        ; implicit-def: $vgpr28_vgpr29
                                        ; implicit-def: $vgpr36_vgpr37
                                        ; implicit-def: $vgpr44_vgpr45
                                        ; implicit-def: $vgpr56_vgpr57
                                        ; implicit-def: $vgpr52_vgpr53
	s_and_saveexec_b64 s[14:15], s[0:1]
	s_cbranch_execz .LBB0_12
; %bb.11:
	s_add_u32 s0, s16, s22
	s_addc_u32 s1, s17, s23
	s_load_dwordx2 s[0:1], s[0:1], 0x0
	v_mad_u64_u32 v[0:1], s[16:17], s20, v101, 0
	v_add_u32_e32 v8, 0x64, v101
	v_add_u32_e32 v10, 0x12c, v101
	s_waitcnt lgkmcnt(0)
	v_mul_lo_u32 v6, s1, v90
	v_mul_lo_u32 v7, s0, v91
	v_mad_u64_u32 v[2:3], s[0:1], s0, v90, 0
	v_mad_u64_u32 v[4:5], s[0:1], s21, v101, v[1:2]
	v_add3_u32 v3, v3, v7, v6
	v_lshlrev_b64 v[2:3], 4, v[2:3]
	v_mov_b32_e32 v1, v4
	v_mov_b32_e32 v4, s9
	v_add_co_u32_e64 v6, s[0:1], s8, v2
	v_addc_co_u32_e64 v7, s[0:1], v4, v3, s[0:1]
	v_mad_u64_u32 v[4:5], s[0:1], s20, v8, 0
	v_lshlrev_b64 v[2:3], 4, v[68:69]
	v_lshlrev_b64 v[0:1], 4, v[0:1]
	v_add_co_u32_e64 v12, s[0:1], v6, v2
	v_mov_b32_e32 v2, v5
	v_addc_co_u32_e64 v13, s[0:1], v7, v3, s[0:1]
	v_mad_u64_u32 v[2:3], s[0:1], s21, v8, v[2:3]
	v_add_u32_e32 v8, 0xc8, v101
	v_mad_u64_u32 v[6:7], s[0:1], s20, v8, 0
	v_mov_b32_e32 v5, v2
	v_add_co_u32_e64 v0, s[0:1], v12, v0
	v_lshlrev_b64 v[2:3], 4, v[4:5]
	v_mov_b32_e32 v4, v7
	v_addc_co_u32_e64 v1, s[0:1], v13, v1, s[0:1]
	v_mad_u64_u32 v[4:5], s[0:1], s21, v8, v[4:5]
	v_mad_u64_u32 v[8:9], s[0:1], s20, v10, 0
	v_mov_b32_e32 v7, v4
	v_add_co_u32_e64 v2, s[0:1], v12, v2
	v_lshlrev_b64 v[4:5], 4, v[6:7]
	v_mov_b32_e32 v6, v9
	v_addc_co_u32_e64 v3, s[0:1], v13, v3, s[0:1]
	v_mad_u64_u32 v[6:7], s[0:1], s21, v10, v[6:7]
	v_add_u32_e32 v7, 0x190, v101
	v_mad_u64_u32 v[10:11], s[0:1], s20, v7, 0
	v_add_co_u32_e64 v68, s[0:1], v12, v4
	v_mov_b32_e32 v9, v6
	v_mov_b32_e32 v6, v11
	v_addc_co_u32_e64 v69, s[0:1], v13, v5, s[0:1]
	v_lshlrev_b64 v[4:5], 4, v[8:9]
	v_mad_u64_u32 v[6:7], s[0:1], s21, v7, v[6:7]
	v_add_u32_e32 v9, 0x1f4, v101
	v_mad_u64_u32 v[7:8], s[0:1], s20, v9, 0
	v_add_co_u32_e64 v70, s[0:1], v12, v4
	v_mov_b32_e32 v11, v6
	v_mov_b32_e32 v6, v8
	v_addc_co_u32_e64 v71, s[0:1], v13, v5, s[0:1]
	v_lshlrev_b64 v[4:5], 4, v[10:11]
	v_mad_u64_u32 v[8:9], s[0:1], s21, v9, v[6:7]
	v_add_u32_e32 v11, 0x258, v101
	v_mad_u64_u32 v[9:10], s[0:1], s20, v11, 0
	v_add_co_u32_e64 v72, s[0:1], v12, v4
	v_mov_b32_e32 v6, v10
	v_addc_co_u32_e64 v73, s[0:1], v13, v5, s[0:1]
	v_lshlrev_b64 v[4:5], 4, v[7:8]
	v_mad_u64_u32 v[6:7], s[0:1], s21, v11, v[6:7]
	v_add_u32_e32 v11, 0x2bc, v101
	v_mad_u64_u32 v[7:8], s[0:1], s20, v11, 0
	v_add_co_u32_e64 v74, s[0:1], v12, v4
	v_mov_b32_e32 v10, v6
	v_mov_b32_e32 v6, v8
	v_addc_co_u32_e64 v75, s[0:1], v13, v5, s[0:1]
	v_lshlrev_b64 v[4:5], 4, v[9:10]
	v_mad_u64_u32 v[8:9], s[0:1], s21, v11, v[6:7]
	v_add_u32_e32 v11, 0x320, v101
	v_mad_u64_u32 v[9:10], s[0:1], s20, v11, 0
	v_add_co_u32_e64 v76, s[0:1], v12, v4
	;; [unrolled: 15-line block ×6, first 2 shown]
	v_mov_b32_e32 v6, v10
	v_addc_co_u32_e64 v97, s[0:1], v13, v5, s[0:1]
	v_lshlrev_b64 v[4:5], 4, v[7:8]
	v_mad_u64_u32 v[6:7], s[0:1], s21, v11, v[6:7]
	v_add_co_u32_e64 v98, s[0:1], v12, v4
	v_mov_b32_e32 v10, v6
	global_load_dwordx4 v[48:51], v[0:1], off
	global_load_dwordx4 v[64:67], v[2:3], off
	v_lshlrev_b64 v[0:1], 4, v[9:10]
	v_addc_co_u32_e64 v99, s[0:1], v13, v5, s[0:1]
	v_add_co_u32_e64 v102, s[0:1], v12, v0
	v_addc_co_u32_e64 v103, s[0:1], v13, v1, s[0:1]
	global_load_dwordx4 v[60:63], v[68:69], off
	global_load_dwordx4 v[40:43], v[70:71], off
	;; [unrolled: 1-line block ×15, first 2 shown]
.LBB0_12:
	s_or_b64 exec, exec, s[14:15]
	v_mov_b32_e32 v100, v101
.LBB0_13:
	s_or_b64 exec, exec, s[6:7]
	s_movk_i32 s0, 0x64
	v_cmp_gt_u32_e64 s[0:1], s0, v101
	s_and_saveexec_b64 s[6:7], s[0:1]
	s_cbranch_execz .LBB0_15
; %bb.14:
	s_waitcnt vmcnt(15)
	v_add_f64 v[68:69], v[64:65], v[48:49]
	s_waitcnt vmcnt(0)
	v_add_f64 v[102:103], v[52:53], v[64:65]
	s_mov_b32 s54, 0x370991
	s_mov_b32 s55, 0x3fedd6d0
	v_add_f64 v[80:81], v[66:67], -v[54:55]
	v_add_f64 v[104:105], v[56:57], v[60:61]
	s_mov_b32 s8, 0x5d8e7cdc
	s_mov_b32 s48, 0x75d4884
	v_add_f64 v[68:69], v[60:61], v[68:69]
	v_mul_f64 v[96:97], v[102:103], s[54:55]
	s_mov_b32 s9, 0xbfd71e95
	s_mov_b32 s49, 0x3fe7a5f6
	v_add_f64 v[78:79], v[62:63], -v[58:59]
	v_add_f64 v[106:107], v[44:45], v[40:41]
	v_mul_f64 v[94:95], v[104:105], s[48:49]
	s_mov_b32 s14, 0x2a9d6da3
	v_add_f64 v[68:69], v[40:41], v[68:69]
	v_fma_f64 v[74:75], v[80:81], s[8:9], v[96:97]
	s_mov_b32 s42, 0x2b2883cd
	s_mov_b32 s15, 0xbfe58eea
	;; [unrolled: 1-line block ×3, first 2 shown]
	v_add_f64 v[76:77], v[42:43], -v[46:47]
	v_add_f64 v[108:109], v[36:37], v[32:33]
	v_mul_f64 v[92:93], v[106:107], s[42:43]
	v_add_f64 v[68:69], v[32:33], v[68:69]
	v_fma_f64 v[82:83], v[78:79], s[14:15], v[94:95]
	v_add_f64 v[84:85], v[48:49], v[74:75]
	s_mov_b32 s16, 0x7c9e640b
	s_mov_b32 s36, 0x3259b75e
	;; [unrolled: 1-line block ×4, first 2 shown]
	v_add_f64 v[70:71], v[34:35], -v[38:39]
	v_add_f64 v[72:73], v[24:25], v[68:69]
	v_add_f64 v[110:111], v[28:29], v[24:25]
	v_mul_f64 v[86:87], v[108:109], s[36:37]
	v_fma_f64 v[98:99], v[76:77], s[16:17], v[92:93]
	v_add_f64 v[82:83], v[82:83], v[84:85]
	s_mov_b32 s26, 0xeb564b22
	s_mov_b32 s40, 0xc61f0d01
	;; [unrolled: 1-line block ×3, first 2 shown]
	v_add_f64 v[72:73], v[16:17], v[72:73]
	s_mov_b32 s41, 0xbfd183b1
	v_add_f64 v[68:69], v[26:27], -v[30:31]
	v_add_f64 v[112:113], v[20:21], v[16:17]
	v_mul_f64 v[84:85], v[110:111], s[40:41]
	v_fma_f64 v[118:119], v[70:71], s[26:27], v[86:87]
	v_add_f64 v[98:99], v[98:99], v[82:83]
	s_mov_b32 s18, 0x923c349f
	v_add_f64 v[72:73], v[8:9], v[72:73]
	s_mov_b32 s46, 0x6ed5f1bb
	s_mov_b32 s19, 0x3feec746
	;; [unrolled: 1-line block ×5, first 2 shown]
	v_add_f64 v[74:75], v[18:19], -v[22:23]
	v_add_f64 v[114:115], v[12:13], v[8:9]
	v_add_f64 v[116:117], v[0:1], v[72:73]
	v_mul_f64 v[82:83], v[112:113], s[46:47]
	v_mul_f64 v[122:123], v[102:103], s[42:43]
	v_fma_f64 v[124:125], v[68:69], s[24:25], v[84:85]
	v_add_f64 v[118:119], v[118:119], v[98:99]
	s_mov_b32 s20, 0x6c9a05f6
	s_mov_b32 s58, 0x910ea3b9
	;; [unrolled: 1-line block ×3, first 2 shown]
	v_add_f64 v[116:117], v[4:5], v[116:117]
	s_mov_b32 s29, 0xbfe9895b
	s_mov_b32 s59, 0xbfeb34fa
	;; [unrolled: 1-line block ×3, first 2 shown]
	v_add_f64 v[72:73], v[10:11], -v[14:15]
	v_mul_f64 v[98:99], v[114:115], s[58:59]
	v_mul_f64 v[126:127], v[104:105], s[46:47]
	v_fma_f64 v[128:129], v[74:75], s[28:29], v[82:83]
	v_add_f64 v[116:117], v[12:13], v[116:117]
	v_add_f64 v[118:119], v[124:125], v[118:119]
	v_fma_f64 v[124:125], v[80:81], s[16:17], v[122:123]
	v_mul_f64 v[130:131], v[102:103], s[48:49]
	s_mov_b32 s22, 0x4363dd80
	s_mov_b32 s60, 0x7faef3
	;; [unrolled: 1-line block ×4, first 2 shown]
	v_add_f64 v[116:117], v[20:21], v[116:117]
	s_mov_b32 s61, 0xbfef7484
	s_mov_b32 s30, s22
	v_mul_f64 v[132:133], v[106:107], s[60:61]
	v_fma_f64 v[134:135], v[72:73], s[30:31], v[98:99]
	v_fma_f64 v[136:137], v[78:79], s[28:29], v[126:127]
	v_add_f64 v[118:119], v[128:129], v[118:119]
	v_add_f64 v[124:125], v[48:49], v[124:125]
	;; [unrolled: 1-line block ×3, first 2 shown]
	v_mul_f64 v[128:129], v[104:105], s[36:37]
	v_fma_f64 v[138:139], v[80:81], s[14:15], v[130:131]
	s_mov_b32 s34, 0xacd6c6b4
	s_mov_b32 s35, 0x3fc7851a
	v_add_f64 v[120:121], v[4:5], v[0:1]
	v_add_f64 v[118:119], v[134:135], v[118:119]
	;; [unrolled: 1-line block ×4, first 2 shown]
	v_fma_f64 v[134:135], v[76:77], s[34:35], v[132:133]
	v_add_f64 v[136:137], v[48:49], v[138:139]
	v_fma_f64 v[138:139], v[78:79], s[26:27], v[128:129]
	v_mul_f64 v[142:143], v[106:107], s[46:47]
	v_mul_f64 v[144:145], v[108:109], s[40:41]
	v_add_f64 v[140:141], v[2:3], -v[6:7]
	v_mul_f64 v[146:147], v[120:121], s[60:61]
	v_add_f64 v[116:117], v[44:45], v[116:117]
	v_add_f64 v[124:125], v[134:135], v[124:125]
	s_mov_b32 s39, 0xbfc7851a
	v_add_f64 v[134:135], v[138:139], v[136:137]
	v_mul_f64 v[136:137], v[108:109], s[60:61]
	v_fma_f64 v[138:139], v[76:77], s[28:29], v[142:143]
	v_fma_f64 v[148:149], v[70:71], s[18:19], v[144:145]
	s_mov_b32 s38, s34
	v_fma_f64 v[150:151], v[140:141], s[38:39], v[146:147]
	v_add_f64 v[116:117], v[56:57], v[116:117]
	v_mul_f64 v[152:153], v[110:111], s[48:49]
	s_mov_b32 s45, 0x3fe58eea
	v_fma_f64 v[154:155], v[70:71], s[38:39], v[136:137]
	v_add_f64 v[134:135], v[138:139], v[134:135]
	v_add_f64 v[124:125], v[148:149], v[124:125]
	v_mul_f64 v[138:139], v[110:111], s[58:59]
	v_mul_f64 v[148:149], v[102:103], s[40:41]
	s_mov_b32 s44, s14
	v_add_f64 v[118:119], v[150:151], v[118:119]
	v_add_f64 v[116:117], v[52:53], v[116:117]
	v_fma_f64 v[150:151], v[68:69], s[44:45], v[152:153]
	v_mul_f64 v[156:157], v[112:113], s[54:55]
	v_add_f64 v[134:135], v[154:155], v[134:135]
	v_fma_f64 v[154:155], v[68:69], s[22:23], v[138:139]
	v_mul_f64 v[158:159], v[112:113], s[40:41]
	v_fma_f64 v[160:161], v[80:81], s[24:25], v[148:149]
	v_mul_f64 v[162:163], v[104:105], s[58:59]
	s_movk_i32 s33, 0x88
	v_mad_u32_u24 v238, v101, s33, 0
	v_add_f64 v[124:125], v[150:151], v[124:125]
	v_fma_f64 v[150:151], v[74:75], s[8:9], v[156:157]
	v_mul_f64 v[164:165], v[114:115], s[36:37]
	ds_write2_b64 v238, v[116:117], v[118:119] offset1:1
	v_add_f64 v[116:117], v[154:155], v[134:135]
	v_fma_f64 v[118:119], v[74:75], s[18:19], v[158:159]
	v_add_f64 v[134:135], v[48:49], v[160:161]
	v_fma_f64 v[154:155], v[78:79], s[22:23], v[162:163]
	v_mul_f64 v[160:161], v[106:107], s[48:49]
	v_add_f64 v[124:125], v[150:151], v[124:125]
	v_fma_f64 v[150:151], v[72:73], s[26:27], v[164:165]
	v_mul_f64 v[168:169], v[114:115], s[42:43]
	v_mul_f64 v[170:171], v[102:103], s[36:37]
	v_add_f64 v[116:117], v[118:119], v[116:117]
	s_mov_b32 s53, 0x3feca52d
	v_add_f64 v[118:119], v[154:155], v[134:135]
	v_fma_f64 v[134:135], v[76:77], s[44:45], v[160:161]
	v_mul_f64 v[154:155], v[108:109], s[42:43]
	s_mov_b32 s52, s16
	v_fma_f64 v[172:173], v[72:73], s[52:53], v[168:169]
	v_fma_f64 v[174:175], v[80:81], s[26:27], v[170:171]
	v_mul_f64 v[176:177], v[104:105], s[60:61]
	v_add_f64 v[124:125], v[150:151], v[124:125]
	v_mul_f64 v[150:151], v[110:111], s[60:61]
	v_add_f64 v[118:119], v[134:135], v[118:119]
	v_fma_f64 v[134:135], v[70:71], s[16:17], v[154:155]
	v_mul_f64 v[166:167], v[120:121], s[58:59]
	v_add_f64 v[116:117], v[172:173], v[116:117]
	v_add_f64 v[172:173], v[48:49], v[174:175]
	v_fma_f64 v[174:175], v[78:79], s[38:39], v[176:177]
	v_mul_f64 v[180:181], v[106:107], s[40:41]
	v_mul_f64 v[182:183], v[120:121], s[54:55]
	s_mov_b32 s51, 0x3fd71e95
	v_add_f64 v[118:119], v[134:135], v[118:119]
	v_fma_f64 v[134:135], v[68:69], s[38:39], v[150:151]
	s_mov_b32 s50, s8
	v_fma_f64 v[178:179], v[140:141], s[30:31], v[166:167]
	v_mul_f64 v[184:185], v[112:113], s[36:37]
	v_add_f64 v[172:173], v[174:175], v[172:173]
	v_fma_f64 v[174:175], v[76:77], s[18:19], v[180:181]
	v_mul_f64 v[186:187], v[108:109], s[54:55]
	v_fma_f64 v[188:189], v[140:141], s[50:51], v[182:183]
	v_add_f64 v[118:119], v[134:135], v[118:119]
	v_mul_f64 v[134:135], v[102:103], s[58:59]
	s_mov_b32 s57, 0x3fefdd0d
	s_mov_b32 s56, s26
	v_fma_f64 v[190:191], v[74:75], s[56:57], v[184:185]
	v_add_f64 v[172:173], v[174:175], v[172:173]
	v_fma_f64 v[174:175], v[70:71], s[50:51], v[186:187]
	v_mul_f64 v[192:193], v[110:111], s[42:43]
	v_add_f64 v[124:125], v[178:179], v[124:125]
	v_fma_f64 v[178:179], v[80:81], s[30:31], v[134:135]
	v_mul_f64 v[194:195], v[104:105], s[42:43]
	v_add_f64 v[116:117], v[188:189], v[116:117]
	v_mul_f64 v[188:189], v[114:115], s[54:55]
	v_add_f64 v[118:119], v[190:191], v[118:119]
	v_add_f64 v[172:173], v[174:175], v[172:173]
	v_fma_f64 v[174:175], v[68:69], s[16:17], v[192:193]
	v_mul_f64 v[190:191], v[112:113], s[58:59]
	v_add_f64 v[178:179], v[48:49], v[178:179]
	v_fma_f64 v[196:197], v[78:79], s[52:53], v[194:195]
	v_mul_f64 v[198:199], v[106:107], s[36:37]
	v_fma_f64 v[200:201], v[72:73], s[8:9], v[188:189]
	v_mul_f64 v[204:205], v[102:103], s[46:47]
	v_mul_f64 v[202:203], v[120:121], s[46:47]
	v_add_f64 v[172:173], v[174:175], v[172:173]
	v_fma_f64 v[174:175], v[74:75], s[30:31], v[190:191]
	v_mul_f64 v[206:207], v[114:115], s[46:47]
	v_add_f64 v[178:179], v[196:197], v[178:179]
	v_fma_f64 v[196:197], v[76:77], s[26:27], v[198:199]
	;; [unrolled: 3-line block ×3, first 2 shown]
	v_mul_f64 v[210:211], v[104:105], s[40:41]
	v_mul_f64 v[102:103], v[102:103], s[60:61]
	v_fma_f64 v[212:213], v[140:141], s[28:29], v[202:203]
	v_add_f64 v[172:173], v[174:175], v[172:173]
	v_fma_f64 v[174:175], v[72:73], s[20:21], v[206:207]
	v_add_f64 v[178:179], v[196:197], v[178:179]
	v_fma_f64 v[196:197], v[70:71], s[20:21], v[208:209]
	v_mul_f64 v[214:215], v[110:111], s[54:55]
	v_add_f64 v[200:201], v[48:49], v[200:201]
	v_fma_f64 v[216:217], v[78:79], s[18:19], v[210:211]
	v_mul_f64 v[218:219], v[106:107], s[54:55]
	v_fma_f64 v[222:223], v[80:81], s[34:35], v[102:103]
	v_mul_f64 v[104:105], v[104:105], s[54:55]
	v_fma_f64 v[102:103], v[80:81], s[38:39], v[102:103]
	v_add_f64 v[118:119], v[212:213], v[118:119]
	v_add_f64 v[172:173], v[174:175], v[172:173]
	;; [unrolled: 1-line block ×3, first 2 shown]
	v_fma_f64 v[178:179], v[68:69], s[8:9], v[214:215]
	v_mul_f64 v[196:197], v[112:113], s[60:61]
	v_add_f64 v[200:201], v[216:217], v[200:201]
	v_fma_f64 v[212:213], v[76:77], s[8:9], v[218:219]
	v_mul_f64 v[216:217], v[108:109], s[58:59]
	v_add_f64 v[222:223], v[48:49], v[222:223]
	v_fma_f64 v[228:229], v[78:79], s[8:9], v[104:105]
	v_mul_f64 v[106:107], v[106:107], s[58:59]
	v_fma_f64 v[104:105], v[78:79], s[50:51], v[104:105]
	v_add_f64 v[102:103], v[48:49], v[102:103]
	v_add_f64 v[174:175], v[178:179], v[174:175]
	v_fma_f64 v[178:179], v[74:75], s[38:39], v[196:197]
	v_mul_f64 v[224:225], v[114:115], s[48:49]
	v_add_f64 v[200:201], v[212:213], v[200:201]
	v_fma_f64 v[212:213], v[70:71], s[30:31], v[216:217]
	v_mul_f64 v[226:227], v[110:111], s[36:37]
	v_fma_f64 v[134:135], v[80:81], s[22:23], v[134:135]
	v_add_f64 v[222:223], v[228:229], v[222:223]
	v_fma_f64 v[228:229], v[76:77], s[22:23], v[106:107]
	v_mul_f64 v[108:109], v[108:109], s[48:49]
	v_add_f64 v[102:103], v[104:105], v[102:103]
	v_fma_f64 v[104:105], v[76:77], s[30:31], v[106:107]
	v_add_f64 v[174:175], v[178:179], v[174:175]
	v_fma_f64 v[178:179], v[72:73], s[44:45], v[224:225]
	;; [unrolled: 2-line block ×3, first 2 shown]
	v_mul_f64 v[232:233], v[112:113], s[48:49]
	v_fma_f64 v[194:195], v[78:79], s[16:17], v[194:195]
	v_add_f64 v[134:135], v[48:49], v[134:135]
	v_add_f64 v[222:223], v[228:229], v[222:223]
	v_fma_f64 v[228:229], v[70:71], s[14:15], v[108:109]
	v_mul_f64 v[110:111], v[110:111], s[46:47]
	v_add_f64 v[102:103], v[104:105], v[102:103]
	v_fma_f64 v[108:109], v[70:71], s[44:45], v[108:109]
	v_add_f64 v[174:175], v[178:179], v[174:175]
	v_mul_f64 v[178:179], v[120:121], s[40:41]
	v_add_f64 v[200:201], v[212:213], v[200:201]
	v_fma_f64 v[212:213], v[74:75], s[14:15], v[232:233]
	v_mul_f64 v[234:235], v[114:115], s[60:61]
	v_add_f64 v[134:135], v[194:195], v[134:135]
	v_fma_f64 v[194:195], v[76:77], s[56:57], v[198:199]
	;; [unrolled: 3-line block ×3, first 2 shown]
	v_fma_f64 v[236:237], v[140:141], s[24:25], v[178:179]
	v_add_f64 v[200:201], v[212:213], v[200:201]
	v_fma_f64 v[212:213], v[72:73], s[38:39], v[234:235]
	v_add_f64 v[222:223], v[228:229], v[222:223]
	;; [unrolled: 2-line block ×3, first 2 shown]
	v_fma_f64 v[194:195], v[70:71], s[28:29], v[208:209]
	v_fma_f64 v[104:105], v[80:81], s[20:21], v[204:205]
	;; [unrolled: 1-line block ×3, first 2 shown]
	v_add_f64 v[102:103], v[108:109], v[102:103]
	v_fma_f64 v[108:109], v[74:75], s[52:53], v[112:113]
	v_fma_f64 v[112:113], v[80:81], s[18:19], v[148:149]
	v_add_f64 v[106:107], v[236:237], v[174:175]
	v_add_f64 v[174:175], v[212:213], v[200:201]
	;; [unrolled: 1-line block ×3, first 2 shown]
	v_mul_f64 v[114:115], v[114:115], s[40:41]
	v_add_f64 v[134:135], v[194:195], v[134:135]
	v_fma_f64 v[148:149], v[68:69], s[50:51], v[214:215]
	v_add_f64 v[102:103], v[108:109], v[102:103]
	v_fma_f64 v[108:109], v[78:79], s[30:31], v[162:163]
	;; [unrolled: 2-line block ×4, first 2 shown]
	v_fma_f64 v[114:115], v[72:73], s[24:25], v[114:115]
	v_add_f64 v[134:135], v[148:149], v[134:135]
	v_fma_f64 v[148:149], v[74:75], s[34:35], v[196:197]
	v_fma_f64 v[210:211], v[78:79], s[24:25], v[210:211]
	v_add_f64 v[108:109], v[108:109], v[112:113]
	v_fma_f64 v[112:113], v[76:77], s[14:15], v[160:161]
	v_add_f64 v[104:105], v[48:49], v[104:105]
	;; [unrolled: 2-line block ×3, first 2 shown]
	v_add_f64 v[122:123], v[48:49], v[122:123]
	v_add_f64 v[114:115], v[148:149], v[134:135]
	v_fma_f64 v[134:135], v[80:81], s[56:57], v[170:171]
	v_fma_f64 v[128:129], v[78:79], s[56:57], v[128:129]
	v_add_f64 v[108:109], v[112:113], v[108:109]
	v_fma_f64 v[112:113], v[80:81], s[44:45], v[130:131]
	v_fma_f64 v[80:81], v[80:81], s[50:51], v[96:97]
	v_fma_f64 v[130:131], v[78:79], s[34:35], v[176:177]
	v_fma_f64 v[78:79], v[78:79], s[44:45], v[94:95]
	v_mul_f64 v[200:201], v[120:121], s[42:43]
	v_add_f64 v[134:135], v[48:49], v[134:135]
	v_add_f64 v[104:105], v[210:211], v[104:105]
	v_fma_f64 v[208:209], v[76:77], s[50:51], v[218:219]
	v_add_f64 v[112:113], v[48:49], v[112:113]
	v_add_f64 v[48:49], v[48:49], v[80:81]
	;; [unrolled: 1-line block ×3, first 2 shown]
	v_fma_f64 v[96:97], v[76:77], s[38:39], v[132:133]
	v_fma_f64 v[126:127], v[76:77], s[20:21], v[142:143]
	v_add_f64 v[130:131], v[130:131], v[134:135]
	v_fma_f64 v[134:135], v[76:77], s[24:25], v[180:181]
	v_fma_f64 v[76:77], v[76:77], s[52:53], v[92:93]
	v_add_f64 v[112:113], v[128:129], v[112:113]
	v_add_f64 v[48:49], v[78:79], v[48:49]
	v_fma_f64 v[132:133], v[70:71], s[8:9], v[186:187]
	v_fma_f64 v[198:199], v[140:141], s[52:53], v[200:201]
	v_add_f64 v[110:111], v[204:205], v[110:111]
	v_add_f64 v[104:105], v[208:209], v[104:105]
	;; [unrolled: 1-line block ×3, first 2 shown]
	v_fma_f64 v[204:205], v[70:71], s[22:23], v[216:217]
	v_add_f64 v[80:81], v[96:97], v[122:123]
	v_fma_f64 v[94:95], v[70:71], s[24:25], v[144:145]
	v_add_f64 v[96:97], v[126:127], v[112:113]
	v_fma_f64 v[112:113], v[70:71], s[34:35], v[136:137]
	v_fma_f64 v[154:155], v[70:71], s[52:53], v[154:155]
	;; [unrolled: 1-line block ×3, first 2 shown]
	v_add_f64 v[48:49], v[76:77], v[48:49]
	v_add_f64 v[122:123], v[132:133], v[130:131]
	v_fma_f64 v[78:79], v[68:69], s[52:53], v[192:193]
	v_add_f64 v[162:163], v[198:199], v[174:175]
	v_add_f64 v[104:105], v[204:205], v[104:105]
	v_fma_f64 v[174:175], v[68:69], s[26:27], v[226:227]
	v_add_f64 v[80:81], v[94:95], v[80:81]
	v_fma_f64 v[92:93], v[68:69], s[14:15], v[152:153]
	;; [unrolled: 2-line block ×4, first 2 shown]
	v_fma_f64 v[68:69], v[68:69], s[18:19], v[84:85]
	v_add_f64 v[48:49], v[70:71], v[48:49]
	v_add_f64 v[76:77], v[78:79], v[122:123]
	v_fma_f64 v[78:79], v[74:75], s[22:23], v[190:191]
	v_add_f64 v[104:105], v[174:175], v[104:105]
	v_fma_f64 v[160:161], v[74:75], s[44:45], v[232:233]
	;; [unrolled: 2-line block ×5, first 2 shown]
	v_fma_f64 v[74:75], v[74:75], s[20:21], v[82:83]
	v_add_f64 v[48:49], v[68:69], v[48:49]
	v_mul_f64 v[220:221], v[120:121], s[48:49]
	v_mul_f64 v[120:121], v[120:121], s[36:37]
	v_add_f64 v[76:77], v[78:79], v[76:77]
	v_fma_f64 v[78:79], v[72:73], s[28:29], v[206:207]
	v_fma_f64 v[148:149], v[72:73], s[14:15], v[224:225]
	v_add_f64 v[104:105], v[160:161], v[104:105]
	v_fma_f64 v[160:161], v[72:73], s[34:35], v[234:235]
	v_add_f64 v[80:81], v[86:87], v[80:81]
	v_add_f64 v[86:87], v[94:95], v[92:93]
	v_fma_f64 v[68:69], v[72:73], s[56:57], v[164:165]
	v_fma_f64 v[82:83], v[72:73], s[16:17], v[168:169]
	v_add_f64 v[70:71], v[112:113], v[108:109]
	v_fma_f64 v[84:85], v[72:73], s[50:51], v[188:189]
	v_fma_f64 v[72:73], v[72:73], s[22:23], v[98:99]
	;; [unrolled: 3-line block ×3, first 2 shown]
	v_add_f64 v[76:77], v[78:79], v[76:77]
	v_fma_f64 v[78:79], v[140:141], s[56:57], v[120:121]
	v_add_f64 v[92:93], v[148:149], v[114:115]
	v_add_f64 v[94:95], v[160:161], v[104:105]
	;; [unrolled: 1-line block ×4, first 2 shown]
	v_fma_f64 v[80:81], v[140:141], s[18:19], v[178:179]
	v_fma_f64 v[82:83], v[140:141], s[16:17], v[200:201]
	v_add_f64 v[70:71], v[84:85], v[70:71]
	v_fma_f64 v[84:85], v[140:141], s[20:21], v[202:203]
	v_fma_f64 v[86:87], v[140:141], s[14:15], v[220:221]
	;; [unrolled: 1-line block ×5, first 2 shown]
	v_add_f64 v[48:49], v[72:73], v[48:49]
	v_add_f64 v[172:173], v[230:231], v[172:173]
	;; [unrolled: 1-line block ×11, first 2 shown]
	ds_write2_b64 v238, v[116:117], v[124:125] offset0:2 offset1:3
	ds_write2_b64 v238, v[172:173], v[118:119] offset0:4 offset1:5
	;; [unrolled: 1-line block ×7, first 2 shown]
	ds_write_b64 v238, v[48:49] offset:128
.LBB0_15:
	s_or_b64 exec, exec, s[6:7]
	v_lshl_add_u32 v92, v101, 3, 0
	v_add_u32_e32 v93, 0x800, v92
	v_add_u32_e32 v94, 0x1400, v92
	;; [unrolled: 1-line block ×4, first 2 shown]
	s_waitcnt vmcnt(0) lgkmcnt(0)
	s_barrier
	ds_read2_b64 v[68:71], v92 offset1:170
	ds_read2_b64 v[84:87], v93 offset0:84 offset1:254
	ds_read2_b64 v[80:83], v94 offset0:40 offset1:210
	;; [unrolled: 1-line block ×4, first 2 shown]
	s_waitcnt lgkmcnt(0)
	s_barrier
	s_and_saveexec_b64 s[6:7], s[0:1]
	s_cbranch_execz .LBB0_17
; %bb.16:
	v_add_f64 v[48:49], v[66:67], v[50:51]
	v_add_f64 v[52:53], v[64:65], -v[52:53]
	s_mov_b32 s42, 0x2a9d6da3
	s_mov_b32 s44, 0x7c9e640b
	;; [unrolled: 1-line block ×6, first 2 shown]
	v_add_f64 v[48:49], v[62:63], v[48:49]
	v_add_f64 v[66:67], v[54:55], v[66:67]
	v_add_f64 v[56:57], v[60:61], -v[56:57]
	v_mul_f64 v[64:65], v[52:53], s[42:43]
	v_mul_f64 v[97:98], v[52:53], s[44:45]
	;; [unrolled: 1-line block ×3, first 2 shown]
	s_mov_b32 s26, 0x5d8e7cdc
	s_mov_b32 s14, 0x75d4884
	v_add_f64 v[48:49], v[42:43], v[48:49]
	s_mov_b32 s0, 0x2b2883cd
	s_mov_b32 s8, 0x3259b75e
	;; [unrolled: 1-line block ×7, first 2 shown]
	v_add_f64 v[48:49], v[34:35], v[48:49]
	s_mov_b32 s15, 0x3fe7a5f6
	s_mov_b32 s1, 0x3fdc86fa
	;; [unrolled: 1-line block ×7, first 2 shown]
	v_add_f64 v[48:49], v[26:27], v[48:49]
	v_add_f64 v[62:63], v[58:59], v[62:63]
	v_mul_f64 v[60:61], v[52:53], s[26:27]
	v_mul_f64 v[104:105], v[52:53], s[22:23]
	;; [unrolled: 1-line block ×6, first 2 shown]
	v_add_f64 v[48:49], v[18:19], v[48:49]
	v_mul_f64 v[116:117], v[56:57], s[40:41]
	v_fma_f64 v[126:127], v[66:67], s[14:15], -v[64:65]
	v_fma_f64 v[64:65], v[66:67], s[14:15], v[64:65]
	v_fma_f64 v[128:129], v[66:67], s[0:1], -v[97:98]
	v_fma_f64 v[97:98], v[66:67], s[0:1], v[97:98]
	;; [unrolled: 2-line block ×3, first 2 shown]
	v_add_f64 v[48:49], v[10:11], v[48:49]
	s_mov_b32 s18, 0x370991
	s_mov_b32 s16, 0xc61f0d01
	;; [unrolled: 1-line block ×7, first 2 shown]
	v_add_f64 v[48:49], v[2:3], v[48:49]
	s_mov_b32 s21, 0xbfe348c8
	s_mov_b32 s29, 0xbfeb34fa
	;; [unrolled: 1-line block ×7, first 2 shown]
	v_add_f64 v[48:49], v[6:7], v[48:49]
	s_mov_b32 s50, s22
	s_mov_b32 s36, s44
	v_mul_f64 v[52:53], v[52:53], s[40:41]
	v_mul_f64 v[110:111], v[56:57], s[42:43]
	;; [unrolled: 1-line block ×5, first 2 shown]
	v_add_f64 v[48:49], v[14:15], v[48:49]
	v_fma_f64 v[124:125], v[66:67], s[18:19], -v[60:61]
	v_fma_f64 v[132:133], v[66:67], s[16:17], -v[104:105]
	v_fma_f64 v[104:105], v[66:67], s[16:17], v[104:105]
	v_fma_f64 v[134:135], v[66:67], s[20:21], -v[106:107]
	v_fma_f64 v[106:107], v[66:67], s[20:21], v[106:107]
	v_fma_f64 v[136:137], v[66:67], s[28:29], -v[108:109]
	v_fma_f64 v[140:141], v[62:63], s[8:9], -v[112:113]
	v_add_f64 v[48:49], v[22:23], v[48:49]
	v_fma_f64 v[112:113], v[62:63], s[8:9], v[112:113]
	v_fma_f64 v[142:143], v[62:63], s[20:21], -v[114:115]
	v_fma_f64 v[114:115], v[62:63], s[20:21], v[114:115]
	v_fma_f64 v[144:145], v[62:63], s[34:35], -v[116:117]
	v_fma_f64 v[116:117], v[62:63], s[34:35], v[116:117]
	v_add_f64 v[64:65], v[50:51], v[64:65]
	v_add_f64 v[97:98], v[50:51], v[97:98]
	v_add_f64 v[48:49], v[30:31], v[48:49]
	v_add_f64 v[102:103], v[50:51], v[102:103]
	v_add_f64 v[40:41], v[40:41], -v[44:45]
	s_mov_b32 s47, 0x3fd71e95
	s_mov_b32 s46, s26
	v_fma_f64 v[60:61], v[66:67], s[18:19], v[60:61]
	v_fma_f64 v[108:109], v[66:67], s[28:29], v[108:109]
	v_fma_f64 v[138:139], v[66:67], s[34:35], -v[52:53]
	v_add_f64 v[48:49], v[38:39], v[48:49]
	v_fma_f64 v[52:53], v[66:67], s[34:35], v[52:53]
	v_fma_f64 v[66:67], v[62:63], s[14:15], -v[110:111]
	v_add_f64 v[124:125], v[50:51], v[124:125]
	v_add_f64 v[104:105], v[50:51], v[104:105]
	;; [unrolled: 1-line block ×7, first 2 shown]
	v_fma_f64 v[112:113], v[62:63], s[28:29], v[118:119]
	v_fma_f64 v[114:115], v[62:63], s[16:17], v[120:121]
	v_mul_f64 v[56:57], v[56:57], s[46:47]
	v_add_f64 v[42:43], v[46:47], v[42:43]
	v_mul_f64 v[46:47], v[40:41], s[44:45]
	v_fma_f64 v[110:111], v[62:63], s[14:15], v[110:111]
	v_add_f64 v[48:49], v[58:59], v[48:49]
	v_fma_f64 v[146:147], v[62:63], s[28:29], -v[118:119]
	v_add_f64 v[60:61], v[50:51], v[60:61]
	v_add_f64 v[126:127], v[50:51], v[126:127]
	;; [unrolled: 1-line block ×8, first 2 shown]
	v_fma_f64 v[116:117], v[62:63], s[0:1], -v[122:123]
	v_add_f64 v[108:109], v[50:51], v[108:109]
	v_add_f64 v[138:139], v[50:51], v[138:139]
	;; [unrolled: 1-line block ×4, first 2 shown]
	v_fma_f64 v[44:45], v[62:63], s[16:17], -v[120:121]
	v_fma_f64 v[118:119], v[62:63], s[0:1], v[122:123]
	v_add_f64 v[104:105], v[112:113], v[104:105]
	v_add_f64 v[106:107], v[114:115], v[106:107]
	;; [unrolled: 1-line block ×3, first 2 shown]
	v_fma_f64 v[114:115], v[62:63], s[18:19], -v[56:57]
	v_fma_f64 v[56:57], v[62:63], s[18:19], v[56:57]
	v_fma_f64 v[62:63], v[42:43], s[0:1], -v[46:47]
	v_mul_f64 v[116:117], v[40:41], s[24:25]
	s_mov_b32 s49, 0x3fc7851a
	s_mov_b32 s48, s40
	v_add_f64 v[58:59], v[110:111], v[60:61]
	v_add_f64 v[60:61], v[140:141], v[126:127]
	;; [unrolled: 1-line block ×3, first 2 shown]
	v_mul_f64 v[118:119], v[40:41], s[48:49]
	v_add_f64 v[50:51], v[56:57], v[50:51]
	v_add_f64 v[52:53], v[62:63], v[52:53]
	v_fma_f64 v[46:47], v[42:43], s[0:1], v[46:47]
	v_fma_f64 v[56:57], v[42:43], s[20:21], -v[116:117]
	v_mul_f64 v[62:63], v[40:41], s[50:51]
	v_fma_f64 v[116:117], v[42:43], s[20:21], v[116:117]
	s_mov_b32 s49, 0x3fe58eea
	s_mov_b32 s48, s42
	v_add_f64 v[66:67], v[142:143], v[128:129]
	v_add_f64 v[110:111], v[144:145], v[130:131]
	v_fma_f64 v[120:121], v[42:43], s[34:35], -v[118:119]
	v_mul_f64 v[122:123], v[40:41], s[48:49]
	v_add_f64 v[46:47], v[46:47], v[58:59]
	v_fma_f64 v[58:59], v[42:43], s[34:35], v[118:119]
	v_fma_f64 v[118:119], v[42:43], s[16:17], -v[62:63]
	v_add_f64 v[56:57], v[56:57], v[60:61]
	v_add_f64 v[60:61], v[116:117], v[64:65]
	v_fma_f64 v[62:63], v[42:43], s[16:17], v[62:63]
	v_mul_f64 v[116:117], v[40:41], s[26:27]
	v_add_f64 v[102:103], v[146:147], v[132:133]
	v_add_f64 v[44:45], v[44:45], v[134:135]
	;; [unrolled: 1-line block ×3, first 2 shown]
	v_fma_f64 v[66:67], v[42:43], s[14:15], -v[122:123]
	v_add_f64 v[58:59], v[58:59], v[97:98]
	v_add_f64 v[97:98], v[118:119], v[110:111]
	v_mul_f64 v[110:111], v[40:41], s[38:39]
	v_add_f64 v[54:55], v[62:63], v[54:55]
	v_add_f64 v[32:33], v[32:33], -v[36:37]
	v_fma_f64 v[62:63], v[42:43], s[18:19], -v[116:117]
	v_mul_f64 v[40:41], v[40:41], s[30:31]
	v_fma_f64 v[118:119], v[42:43], s[14:15], v[122:123]
	v_add_f64 v[36:37], v[66:67], v[102:103]
	v_fma_f64 v[66:67], v[42:43], s[18:19], v[116:117]
	v_fma_f64 v[102:103], v[42:43], s[8:9], -v[110:111]
	v_add_f64 v[34:35], v[38:39], v[34:35]
	v_mul_f64 v[38:39], v[32:33], s[38:39]
	v_fma_f64 v[110:111], v[42:43], s[8:9], v[110:111]
	v_add_f64 v[44:45], v[62:63], v[44:45]
	v_fma_f64 v[62:63], v[42:43], s[28:29], -v[40:41]
	v_fma_f64 v[40:41], v[42:43], s[28:29], v[40:41]
	v_mul_f64 v[42:43], v[32:33], s[40:41]
	v_add_f64 v[114:115], v[114:115], v[138:139]
	v_add_f64 v[66:67], v[66:67], v[106:107]
	;; [unrolled: 1-line block ×3, first 2 shown]
	v_fma_f64 v[106:107], v[34:35], s[8:9], -v[38:39]
	v_add_f64 v[108:109], v[110:111], v[108:109]
	v_mul_f64 v[110:111], v[32:33], s[50:51]
	v_fma_f64 v[38:39], v[34:35], s[8:9], v[38:39]
	v_mul_f64 v[112:113], v[32:33], s[46:47]
	v_add_f64 v[40:41], v[40:41], v[50:51]
	v_fma_f64 v[50:51], v[34:35], s[34:35], -v[42:43]
	v_add_f64 v[62:63], v[62:63], v[114:115]
	v_add_f64 v[52:53], v[106:107], v[52:53]
	v_fma_f64 v[42:43], v[34:35], s[34:35], v[42:43]
	v_fma_f64 v[106:107], v[34:35], s[16:17], -v[110:111]
	v_fma_f64 v[110:111], v[34:35], s[16:17], v[110:111]
	v_add_f64 v[38:39], v[38:39], v[46:47]
	v_fma_f64 v[46:47], v[34:35], s[18:19], -v[112:113]
	v_mul_f64 v[114:115], v[32:33], s[44:45]
	v_add_f64 v[50:51], v[50:51], v[56:57]
	v_mul_f64 v[56:57], v[32:33], s[30:31]
	s_mov_b32 s55, 0x3fe9895b
	s_mov_b32 s54, s24
	v_add_f64 v[104:105], v[118:119], v[104:105]
	v_add_f64 v[42:43], v[42:43], v[60:61]
	;; [unrolled: 1-line block ×4, first 2 shown]
	v_fma_f64 v[64:65], v[34:35], s[18:19], v[112:113]
	v_add_f64 v[46:47], v[46:47], v[97:98]
	v_fma_f64 v[97:98], v[34:35], s[0:1], -v[114:115]
	v_fma_f64 v[106:107], v[34:35], s[0:1], v[114:115]
	v_fma_f64 v[110:111], v[34:35], s[28:29], -v[56:57]
	v_mul_f64 v[112:113], v[32:33], s[54:55]
	v_mul_f64 v[32:33], v[32:33], s[48:49]
	v_add_f64 v[24:25], v[24:25], -v[28:29]
	v_fma_f64 v[56:57], v[34:35], s[28:29], v[56:57]
	v_add_f64 v[54:55], v[64:65], v[54:55]
	v_add_f64 v[36:37], v[97:98], v[36:37]
	;; [unrolled: 1-line block ×4, first 2 shown]
	v_fma_f64 v[64:65], v[34:35], s[20:21], -v[112:113]
	v_fma_f64 v[97:98], v[34:35], s[20:21], v[112:113]
	v_fma_f64 v[104:105], v[34:35], s[14:15], -v[32:33]
	v_mul_f64 v[30:31], v[24:25], s[22:23]
	v_fma_f64 v[32:33], v[34:35], s[14:15], v[32:33]
	v_add_f64 v[34:35], v[56:57], v[66:67]
	v_mul_f64 v[56:57], v[24:25], s[52:53]
	v_mul_f64 v[66:67], v[24:25], s[48:49]
	v_add_f64 v[64:65], v[64:65], v[102:103]
	v_mul_f64 v[106:107], v[24:25], s[44:45]
	v_add_f64 v[62:63], v[104:105], v[62:63]
	v_fma_f64 v[102:103], v[26:27], s[16:17], -v[30:31]
	v_add_f64 v[32:33], v[32:33], v[40:41]
	v_fma_f64 v[30:31], v[26:27], s[16:17], v[30:31]
	v_fma_f64 v[40:41], v[26:27], s[28:29], -v[56:57]
	v_fma_f64 v[56:57], v[26:27], s[28:29], v[56:57]
	v_fma_f64 v[104:105], v[26:27], s[14:15], -v[66:67]
	v_fma_f64 v[66:67], v[26:27], s[14:15], v[66:67]
	s_mov_b32 s45, 0x3fefdd0d
	v_add_f64 v[52:53], v[102:103], v[52:53]
	v_mul_f64 v[102:103], v[24:25], s[40:41]
	v_add_f64 v[30:31], v[30:31], v[38:39]
	v_add_f64 v[38:39], v[40:41], v[50:51]
	v_fma_f64 v[50:51], v[26:27], s[0:1], -v[106:107]
	s_mov_b32 s44, s38
	v_add_f64 v[40:41], v[56:57], v[42:43]
	v_add_f64 v[42:43], v[104:105], v[60:61]
	;; [unrolled: 1-line block ×3, first 2 shown]
	v_fma_f64 v[58:59], v[26:27], s[0:1], v[106:107]
	v_fma_f64 v[60:61], v[26:27], s[34:35], -v[102:103]
	v_mul_f64 v[66:67], v[24:25], s[44:45]
	v_add_f64 v[46:47], v[50:51], v[46:47]
	v_mul_f64 v[50:51], v[24:25], s[26:27]
	v_add_f64 v[16:17], v[16:17], -v[20:21]
	v_mul_f64 v[20:21], v[24:25], s[24:25]
	v_add_f64 v[44:45], v[110:111], v[44:45]
	v_add_f64 v[54:55], v[58:59], v[54:55]
	v_add_f64 v[36:37], v[60:61], v[36:37]
	v_fma_f64 v[24:25], v[26:27], s[8:9], -v[66:67]
	v_fma_f64 v[58:59], v[26:27], s[8:9], v[66:67]
	v_fma_f64 v[60:61], v[26:27], s[18:19], -v[50:51]
	v_add_f64 v[18:19], v[22:23], v[18:19]
	v_mul_f64 v[22:23], v[16:17], s[24:25]
	v_fma_f64 v[66:67], v[26:27], s[20:21], -v[20:21]
	v_fma_f64 v[20:21], v[26:27], s[20:21], v[20:21]
	v_fma_f64 v[102:103], v[26:27], s[34:35], v[102:103]
	;; [unrolled: 1-line block ×3, first 2 shown]
	v_add_f64 v[24:25], v[24:25], v[44:45]
	v_add_f64 v[26:27], v[58:59], v[34:35]
	;; [unrolled: 1-line block ×3, first 2 shown]
	v_mul_f64 v[44:45], v[16:17], s[50:51]
	v_fma_f64 v[58:59], v[18:19], s[20:21], -v[22:23]
	v_add_f64 v[60:61], v[66:67], v[62:63]
	v_mul_f64 v[62:63], v[16:17], s[26:27]
	v_add_f64 v[20:21], v[20:21], v[32:33]
	v_fma_f64 v[22:23], v[18:19], s[20:21], v[22:23]
	v_mul_f64 v[32:33], v[16:17], s[30:31]
	v_add_f64 v[97:98], v[97:98], v[108:109]
	v_fma_f64 v[64:65], v[18:19], s[16:17], -v[44:45]
	v_fma_f64 v[44:45], v[18:19], s[16:17], v[44:45]
	v_add_f64 v[52:53], v[58:59], v[52:53]
	v_mul_f64 v[58:59], v[16:17], s[44:45]
	v_fma_f64 v[66:67], v[18:19], s[18:19], -v[62:63]
	v_fma_f64 v[62:63], v[18:19], s[18:19], v[62:63]
	v_add_f64 v[22:23], v[22:23], v[30:31]
	v_fma_f64 v[30:31], v[18:19], s[28:29], -v[32:33]
	v_add_f64 v[28:29], v[102:103], v[28:29]
	v_add_f64 v[40:41], v[44:45], v[40:41]
	v_fma_f64 v[32:33], v[18:19], s[28:29], v[32:33]
	v_fma_f64 v[44:45], v[18:19], s[8:9], -v[58:59]
	v_add_f64 v[8:9], v[8:9], -v[12:13]
	v_add_f64 v[56:57], v[62:63], v[56:57]
	v_mul_f64 v[62:63], v[16:17], s[42:43]
	v_add_f64 v[30:31], v[30:31], v[46:47]
	v_fma_f64 v[46:47], v[18:19], s[8:9], v[58:59]
	v_mul_f64 v[58:59], v[16:17], s[40:41]
	v_mul_f64 v[12:13], v[16:17], s[36:37]
	v_add_f64 v[50:51], v[50:51], v[97:98]
	v_add_f64 v[32:33], v[32:33], v[54:55]
	v_add_f64 v[36:37], v[44:45], v[36:37]
	v_fma_f64 v[16:17], v[18:19], s[14:15], -v[62:63]
	v_fma_f64 v[44:45], v[18:19], s[14:15], v[62:63]
	v_add_f64 v[28:29], v[46:47], v[28:29]
	v_fma_f64 v[46:47], v[18:19], s[34:35], -v[58:59]
	v_fma_f64 v[54:55], v[18:19], s[34:35], v[58:59]
	v_add_f64 v[10:11], v[14:15], v[10:11]
	v_mul_f64 v[14:15], v[8:9], s[30:31]
	v_fma_f64 v[58:59], v[18:19], s[0:1], -v[12:13]
	v_fma_f64 v[12:13], v[18:19], s[0:1], v[12:13]
	v_mul_f64 v[18:19], v[8:9], s[36:37]
	v_add_f64 v[16:17], v[16:17], v[24:25]
	v_add_f64 v[24:25], v[44:45], v[26:27]
	v_add_f64 v[26:27], v[46:47], v[34:35]
	v_add_f64 v[34:35], v[54:55], v[50:51]
	v_fma_f64 v[44:45], v[10:11], s[28:29], -v[14:15]
	v_mul_f64 v[50:51], v[8:9], s[38:39]
	v_fma_f64 v[14:15], v[10:11], s[28:29], v[14:15]
	v_add_f64 v[38:39], v[64:65], v[38:39]
	v_add_f64 v[12:13], v[12:13], v[20:21]
	v_fma_f64 v[20:21], v[10:11], s[0:1], -v[18:19]
	v_fma_f64 v[18:19], v[10:11], s[0:1], v[18:19]
	v_mul_f64 v[54:55], v[8:9], s[54:55]
	v_add_f64 v[44:45], v[44:45], v[52:53]
	v_mul_f64 v[52:53], v[8:9], s[26:27]
	v_add_f64 v[14:15], v[14:15], v[22:23]
	v_fma_f64 v[22:23], v[10:11], s[8:9], v[50:51]
	v_add_f64 v[46:47], v[58:59], v[60:61]
	v_add_f64 v[20:21], v[20:21], v[38:39]
	;; [unrolled: 1-line block ×3, first 2 shown]
	v_fma_f64 v[38:39], v[10:11], s[20:21], -v[54:55]
	v_fma_f64 v[40:41], v[10:11], s[20:21], v[54:55]
	v_mul_f64 v[54:55], v[8:9], s[40:41]
	v_fma_f64 v[58:59], v[10:11], s[8:9], -v[50:51]
	v_add_f64 v[22:23], v[22:23], v[56:57]
	v_mul_f64 v[56:57], v[8:9], s[48:49]
	v_fma_f64 v[50:51], v[10:11], s[18:19], -v[52:53]
	v_add_f64 v[0:1], v[0:1], -v[4:5]
	v_add_f64 v[30:31], v[38:39], v[30:31]
	v_mul_f64 v[8:9], v[8:9], s[22:23]
	v_fma_f64 v[4:5], v[10:11], s[34:35], -v[54:55]
	v_fma_f64 v[38:39], v[10:11], s[34:35], v[54:55]
	v_add_f64 v[32:33], v[40:41], v[32:33]
	v_fma_f64 v[40:41], v[10:11], s[14:15], -v[56:57]
	v_add_f64 v[36:37], v[50:51], v[36:37]
	v_fma_f64 v[50:51], v[10:11], s[14:15], v[56:57]
	v_add_f64 v[2:3], v[6:7], v[2:3]
	v_mul_f64 v[6:7], v[0:1], s[40:41]
	v_add_f64 v[4:5], v[4:5], v[16:17]
	v_add_f64 v[16:17], v[38:39], v[24:25]
	v_mul_f64 v[24:25], v[0:1], s[46:47]
	v_fma_f64 v[38:39], v[10:11], s[16:17], -v[8:9]
	v_add_f64 v[42:43], v[66:67], v[42:43]
	v_add_f64 v[26:27], v[40:41], v[26:27]
	v_fma_f64 v[8:9], v[10:11], s[16:17], v[8:9]
	v_mul_f64 v[40:41], v[0:1], s[30:31]
	v_fma_f64 v[52:53], v[10:11], s[18:19], v[52:53]
	v_add_f64 v[34:35], v[50:51], v[34:35]
	v_fma_f64 v[10:11], v[2:3], s[34:35], -v[6:7]
	v_fma_f64 v[6:7], v[2:3], s[34:35], v[6:7]
	v_fma_f64 v[50:51], v[2:3], s[18:19], -v[24:25]
	v_fma_f64 v[24:25], v[2:3], s[18:19], v[24:25]
	v_add_f64 v[38:39], v[38:39], v[46:47]
	v_mul_f64 v[46:47], v[0:1], s[48:49]
	v_add_f64 v[42:43], v[58:59], v[42:43]
	v_add_f64 v[8:9], v[8:9], v[12:13]
	v_fma_f64 v[12:13], v[2:3], s[28:29], -v[40:41]
	v_add_f64 v[10:11], v[10:11], v[44:45]
	v_add_f64 v[6:7], v[6:7], v[14:15]
	;; [unrolled: 1-line block ×4, first 2 shown]
	v_fma_f64 v[20:21], v[2:3], s[28:29], v[40:41]
	v_fma_f64 v[24:25], v[2:3], s[14:15], -v[46:47]
	v_mul_f64 v[44:45], v[0:1], s[24:25]
	v_fma_f64 v[40:41], v[2:3], s[14:15], v[46:47]
	v_mul_f64 v[46:47], v[0:1], s[36:37]
	v_add_f64 v[12:13], v[12:13], v[42:43]
	v_mul_f64 v[42:43], v[0:1], s[22:23]
	v_mul_f64 v[0:1], v[0:1], s[44:45]
	v_add_f64 v[20:21], v[20:21], v[22:23]
	v_add_f64 v[22:23], v[24:25], v[30:31]
	v_fma_f64 v[30:31], v[2:3], s[20:21], -v[44:45]
	v_add_f64 v[24:25], v[40:41], v[32:33]
	v_fma_f64 v[32:33], v[2:3], s[0:1], -v[46:47]
	v_fma_f64 v[40:41], v[2:3], s[0:1], v[46:47]
	v_fma_f64 v[46:47], v[2:3], s[16:17], -v[42:43]
	v_fma_f64 v[50:51], v[2:3], s[8:9], -v[0:1]
	v_fma_f64 v[0:1], v[2:3], s[8:9], v[0:1]
	v_fma_f64 v[42:43], v[2:3], s[16:17], v[42:43]
	v_add_f64 v[28:29], v[52:53], v[28:29]
	v_fma_f64 v[2:3], v[2:3], s[20:21], v[44:45]
	v_add_f64 v[30:31], v[30:31], v[36:37]
	v_add_f64 v[4:5], v[32:33], v[4:5]
	;; [unrolled: 1-line block ×8, first 2 shown]
	v_lshl_add_u32 v28, v101, 7, v92
	ds_write2_b64 v28, v[48:49], v[10:11] offset1:1
	ds_write2_b64 v28, v[14:15], v[12:13] offset0:2 offset1:3
	ds_write2_b64 v28, v[22:23], v[30:31] offset0:4 offset1:5
	;; [unrolled: 1-line block ×7, first 2 shown]
	ds_write_b64 v28, v[6:7] offset:128
.LBB0_17:
	s_or_b64 exec, exec, s[6:7]
	s_movk_i32 s0, 0xf1
	v_mul_lo_u16_sdwa v0, v101, s0 dst_sel:DWORD dst_unused:UNUSED_PAD src0_sel:BYTE_0 src1_sel:DWORD
	v_lshrrev_b16_e32 v99, 12, v0
	v_mul_lo_u16_e32 v0, 17, v99
	v_sub_u16_e32 v106, v101, v0
	v_mov_b32_e32 v0, 9
	v_mul_u32_u24_sdwa v0, v106, v0 dst_sel:DWORD dst_unused:UNUSED_PAD src0_sel:BYTE_0 src1_sel:DWORD
	v_lshlrev_b32_e32 v36, 4, v0
	s_waitcnt lgkmcnt(0)
	s_barrier
	global_load_dwordx4 v[0:3], v36, s[12:13]
	global_load_dwordx4 v[4:7], v36, s[12:13] offset:16
	global_load_dwordx4 v[8:11], v36, s[12:13] offset:32
	global_load_dwordx4 v[12:15], v36, s[12:13] offset:48
	global_load_dwordx4 v[16:19], v36, s[12:13] offset:64
	global_load_dwordx4 v[20:23], v36, s[12:13] offset:80
	global_load_dwordx4 v[24:27], v36, s[12:13] offset:96
	global_load_dwordx4 v[28:31], v36, s[12:13] offset:112
	global_load_dwordx4 v[32:35], v36, s[12:13] offset:128
	ds_read2_b64 v[36:39], v92 offset1:170
	ds_read2_b64 v[40:43], v93 offset0:84 offset1:254
	ds_read2_b64 v[44:47], v94 offset0:40 offset1:210
	;; [unrolled: 1-line block ×4, first 2 shown]
	s_mov_b32 s0, 0x134454ff
	s_mov_b32 s1, 0xbfee6f0e
	;; [unrolled: 1-line block ×16, first 2 shown]
	s_waitcnt vmcnt(0) lgkmcnt(0)
	s_barrier
	v_mul_f64 v[56:57], v[38:39], v[2:3]
	v_mul_f64 v[2:3], v[70:71], v[2:3]
	;; [unrolled: 1-line block ×18, first 2 shown]
	v_fma_f64 v[56:57], v[70:71], v[0:1], v[56:57]
	v_fma_f64 v[0:1], v[38:39], v[0:1], -v[2:3]
	v_fma_f64 v[2:3], v[84:85], v[4:5], v[58:59]
	v_fma_f64 v[4:5], v[40:41], v[4:5], -v[6:7]
	;; [unrolled: 2-line block ×6, first 2 shown]
	v_fma_f64 v[22:23], v[52:53], v[28:29], -v[30:31]
	v_fma_f64 v[30:31], v[78:79], v[24:25], v[97:98]
	v_fma_f64 v[24:25], v[50:51], v[24:25], -v[26:27]
	v_fma_f64 v[26:27], v[72:73], v[28:29], v[102:103]
	v_fma_f64 v[28:29], v[74:75], v[32:33], v[104:105]
	v_fma_f64 v[32:33], v[54:55], v[32:33], -v[34:35]
	v_add_f64 v[34:35], v[68:69], v[2:3]
	v_add_f64 v[38:39], v[10:11], v[18:19]
	v_add_f64 v[40:41], v[4:5], -v[22:23]
	v_add_f64 v[44:45], v[2:3], -v[10:11]
	;; [unrolled: 1-line block ×4, first 2 shown]
	v_add_f64 v[48:49], v[2:3], v[26:27]
	v_add_f64 v[54:55], v[36:37], v[4:5]
	v_add_f64 v[58:59], v[12:13], v[20:21]
	v_add_f64 v[60:61], v[10:11], -v[18:19]
	v_add_f64 v[66:67], v[4:5], v[22:23]
	v_add_f64 v[10:11], v[34:35], v[10:11]
	v_fma_f64 v[34:35], v[38:39], -0.5, v[68:69]
	v_add_f64 v[42:43], v[12:13], -v[20:21]
	v_add_f64 v[52:53], v[18:19], -v[26:27]
	;; [unrolled: 1-line block ×6, first 2 shown]
	v_add_f64 v[72:73], v[56:57], v[6:7]
	v_add_f64 v[38:39], v[44:45], v[46:47]
	v_fma_f64 v[44:45], v[48:49], -0.5, v[68:69]
	v_add_f64 v[12:13], v[54:55], v[12:13]
	v_fma_f64 v[48:49], v[58:59], -0.5, v[36:37]
	v_fma_f64 v[36:37], v[66:67], -0.5, v[36:37]
	v_add_f64 v[10:11], v[10:11], v[18:19]
	v_fma_f64 v[18:19], v[40:41], s[0:1], v[34:35]
	v_fma_f64 v[34:35], v[40:41], s[16:17], v[34:35]
	v_add_f64 v[70:71], v[20:21], -v[22:23]
	v_add_f64 v[46:47], v[50:51], v[52:53]
	v_add_f64 v[50:51], v[62:63], v[64:65]
	;; [unrolled: 1-line block ×4, first 2 shown]
	v_fma_f64 v[20:21], v[2:3], s[16:17], v[48:49]
	v_fma_f64 v[48:49], v[2:3], s[0:1], v[48:49]
	;; [unrolled: 1-line block ×4, first 2 shown]
	v_add_f64 v[10:11], v[10:11], v[26:27]
	v_fma_f64 v[18:19], v[42:43], s[6:7], v[18:19]
	v_fma_f64 v[26:27], v[42:43], s[14:15], v[34:35]
	v_add_f64 v[86:87], v[16:17], v[24:25]
	v_add_f64 v[4:5], v[4:5], v[70:71]
	v_fma_f64 v[58:59], v[42:43], s[16:17], v[44:45]
	v_fma_f64 v[44:45], v[42:43], s[0:1], v[44:45]
	v_add_f64 v[12:13], v[12:13], v[22:23]
	v_fma_f64 v[20:21], v[60:61], s[14:15], v[20:21]
	v_fma_f64 v[22:23], v[60:61], s[6:7], v[48:49]
	;; [unrolled: 1-line block ×6, first 2 shown]
	v_add_f64 v[38:39], v[52:53], v[30:31]
	v_add_f64 v[74:75], v[14:15], v[30:31]
	;; [unrolled: 1-line block ×3, first 2 shown]
	v_fma_f64 v[34:35], v[40:41], s[6:7], v[58:59]
	v_fma_f64 v[40:41], v[40:41], s[14:15], v[44:45]
	;; [unrolled: 1-line block ×4, first 2 shown]
	v_fma_f64 v[50:51], v[86:87], -0.5, v[0:1]
	v_add_f64 v[52:53], v[6:7], -v[28:29]
	v_fma_f64 v[42:43], v[4:5], s[8:9], v[42:43]
	v_fma_f64 v[2:3], v[4:5], s[8:9], v[2:3]
	v_add_f64 v[4:5], v[38:39], v[28:29]
	v_add_f64 v[38:39], v[8:9], v[32:33]
	v_add_f64 v[76:77], v[8:9], -v[32:33]
	v_add_f64 v[78:79], v[16:17], -v[24:25]
	v_fma_f64 v[54:55], v[74:75], -0.5, v[56:57]
	v_fma_f64 v[34:35], v[46:47], s[8:9], v[34:35]
	v_fma_f64 v[36:37], v[46:47], s[8:9], v[40:41]
	v_fma_f64 v[46:47], v[84:85], -0.5, v[56:57]
	v_fma_f64 v[56:57], v[52:53], s[16:17], v[50:51]
	v_add_f64 v[58:59], v[14:15], -v[30:31]
	v_add_f64 v[60:61], v[8:9], -v[16:17]
	;; [unrolled: 1-line block ×3, first 2 shown]
	v_fma_f64 v[38:39], v[38:39], -0.5, v[0:1]
	v_add_f64 v[0:1], v[0:1], v[8:9]
	v_add_f64 v[80:81], v[6:7], -v[14:15]
	v_add_f64 v[82:83], v[28:29], -v[30:31]
	v_fma_f64 v[64:65], v[76:77], s[0:1], v[54:55]
	v_fma_f64 v[48:49], v[76:77], s[16:17], v[54:55]
	;; [unrolled: 1-line block ×3, first 2 shown]
	v_add_f64 v[6:7], v[14:15], -v[6:7]
	v_add_f64 v[14:15], v[30:31], -v[28:29]
	v_fma_f64 v[28:29], v[78:79], s[0:1], v[46:47]
	v_fma_f64 v[30:31], v[58:59], s[14:15], v[56:57]
	v_add_f64 v[46:47], v[60:61], v[62:63]
	v_fma_f64 v[56:57], v[58:59], s[0:1], v[38:39]
	v_add_f64 v[8:9], v[16:17], -v[8:9]
	v_add_f64 v[60:61], v[24:25], -v[32:33]
	v_fma_f64 v[38:39], v[58:59], s[16:17], v[38:39]
	v_add_f64 v[0:1], v[0:1], v[16:17]
	v_fma_f64 v[16:17], v[52:53], s[0:1], v[50:51]
	v_add_f64 v[6:7], v[6:7], v[14:15]
	v_fma_f64 v[14:15], v[76:77], s[14:15], v[28:29]
	v_fma_f64 v[28:29], v[46:47], s[8:9], v[30:31]
	v_fma_f64 v[30:31], v[52:53], s[14:15], v[56:57]
	v_add_f64 v[8:9], v[8:9], v[60:61]
	v_fma_f64 v[38:39], v[52:53], s[6:7], v[38:39]
	v_fma_f64 v[40:41], v[78:79], s[6:7], v[64:65]
	;; [unrolled: 4-line block ×3, first 2 shown]
	v_add_f64 v[0:1], v[0:1], v[24:25]
	v_fma_f64 v[30:31], v[8:9], s[8:9], v[30:31]
	v_fma_f64 v[8:9], v[8:9], s[8:9], v[38:39]
	;; [unrolled: 1-line block ×7, first 2 shown]
	v_mul_f64 v[14:15], v[28:29], s[6:7]
	v_mul_f64 v[38:39], v[30:31], s[0:1]
	;; [unrolled: 1-line block ×8, first 2 shown]
	v_fma_f64 v[14:15], v[40:41], s[18:19], v[14:15]
	v_fma_f64 v[38:39], v[44:45], s[8:9], v[38:39]
	;; [unrolled: 1-line block ×4, first 2 shown]
	v_add_f64 v[0:1], v[0:1], v[32:33]
	v_add_f64 v[32:33], v[10:11], v[4:5]
	v_fma_f64 v[28:29], v[40:41], s[14:15], v[28:29]
	v_fma_f64 v[30:31], v[44:45], s[16:17], v[30:31]
	v_add_f64 v[50:51], v[18:19], v[14:15]
	v_fma_f64 v[6:7], v[6:7], s[16:17], v[8:9]
	v_fma_f64 v[8:9], v[24:25], s[14:15], v[16:17]
	v_add_f64 v[16:17], v[34:35], v[38:39]
	v_add_f64 v[24:25], v[36:37], v[46:47]
	;; [unrolled: 1-line block ×3, first 2 shown]
	v_add_f64 v[4:5], v[10:11], -v[4:5]
	v_add_f64 v[10:11], v[18:19], -v[14:15]
	;; [unrolled: 1-line block ×5, first 2 shown]
	v_add_f64 v[44:45], v[12:13], v[0:1]
	v_add_f64 v[34:35], v[12:13], -v[0:1]
	v_mov_b32_e32 v1, 3
	v_mul_u32_u24_e32 v0, 0x550, v99
	v_lshlrev_b32_sdwa v1, v1, v106 dst_sel:DWORD dst_unused:UNUSED_PAD src0_sel:DWORD src1_sel:BYTE_0
	v_add3_u32 v36, 0, v0, v1
	v_add_f64 v[52:53], v[20:21], v[28:29]
	v_add_f64 v[54:55], v[42:43], v[30:31]
	;; [unrolled: 1-line block ×4, first 2 shown]
	v_add_f64 v[20:21], v[20:21], -v[28:29]
	v_add_f64 v[28:29], v[42:43], -v[30:31]
	v_add_f64 v[30:31], v[2:3], -v[6:7]
	v_add_f64 v[22:23], v[22:23], -v[8:9]
	ds_write2_b64 v36, v[32:33], v[50:51] offset1:17
	ds_write2_b64 v36, v[16:17], v[24:25] offset0:34 offset1:51
	ds_write2_b64 v36, v[40:41], v[4:5] offset0:68 offset1:85
	;; [unrolled: 1-line block ×4, first 2 shown]
	s_waitcnt lgkmcnt(0)
	s_barrier
	ds_read2_b64 v[0:3], v92 offset1:170
	ds_read2_b64 v[12:15], v93 offset0:84 offset1:254
	ds_read2_b64 v[4:7], v94 offset0:40 offset1:210
	;; [unrolled: 1-line block ×4, first 2 shown]
	s_waitcnt lgkmcnt(0)
	s_barrier
	ds_write2_b64 v36, v[44:45], v[52:53] offset1:17
	ds_write2_b64 v36, v[54:55], v[56:57] offset0:34 offset1:51
	ds_write2_b64 v36, v[58:59], v[34:35] offset0:68 offset1:85
	;; [unrolled: 1-line block ×4, first 2 shown]
	s_waitcnt lgkmcnt(0)
	s_barrier
	s_and_saveexec_b64 s[24:25], vcc
	s_cbranch_execz .LBB0_19
; %bb.18:
	v_mul_u32_u24_e32 v20, 9, v101
	v_lshlrev_b32_e32 v56, 4, v20
	global_load_dwordx4 v[20:23], v56, s[12:13] offset:2464
	global_load_dwordx4 v[24:27], v56, s[12:13] offset:2496
	;; [unrolled: 1-line block ×9, first 2 shown]
	v_mul_lo_u32 v78, s5, v90
	v_mul_lo_u32 v79, s4, v91
	v_mad_u64_u32 v[76:77], s[4:5], s4, v90, 0
	v_add_u32_e32 v60, 0x800, v92
	v_add_u32_e32 v64, 0x1400, v92
	;; [unrolled: 1-line block ×4, first 2 shown]
	ds_read2_b64 v[56:59], v92 offset1:170
	ds_read2_b64 v[60:63], v60 offset0:84 offset1:254
	ds_read2_b64 v[64:67], v64 offset0:40 offset1:210
	;; [unrolled: 1-line block ×4, first 2 shown]
	v_add3_u32 v77, v77, v79, v78
	s_waitcnt vmcnt(8)
	v_mul_f64 v[78:79], v[12:13], v[22:23]
	s_waitcnt vmcnt(7)
	v_mul_f64 v[80:81], v[4:5], v[26:27]
	s_waitcnt vmcnt(6)
	v_mul_f64 v[82:83], v[16:17], v[30:31]
	s_waitcnt vmcnt(5)
	v_mul_f64 v[84:85], v[8:9], v[34:35]
	s_waitcnt lgkmcnt(3)
	v_mul_f64 v[22:23], v[60:61], v[22:23]
	s_waitcnt lgkmcnt(2)
	v_mul_f64 v[26:27], v[64:65], v[26:27]
	s_waitcnt vmcnt(4)
	v_mul_f64 v[86:87], v[14:15], v[36:37]
	s_waitcnt vmcnt(3)
	v_mul_f64 v[90:91], v[6:7], v[40:41]
	s_waitcnt vmcnt(2)
	v_mul_f64 v[92:93], v[18:19], v[44:45]
	s_waitcnt vmcnt(1)
	v_mul_f64 v[94:95], v[10:11], v[48:49]
	v_mul_f64 v[6:7], v[6:7], v[42:43]
	v_mul_f64 v[10:11], v[10:11], v[50:51]
	v_mul_f64 v[14:15], v[14:15], v[38:39]
	v_mul_f64 v[18:19], v[18:19], v[46:47]
	s_waitcnt lgkmcnt(1)
	v_mul_f64 v[30:31], v[68:69], v[30:31]
	s_waitcnt lgkmcnt(0)
	v_mul_f64 v[34:35], v[72:73], v[34:35]
	s_waitcnt vmcnt(0)
	v_mul_f64 v[96:97], v[2:3], v[52:53]
	v_mul_f64 v[2:3], v[2:3], v[54:55]
	v_fma_f64 v[60:61], v[60:61], v[20:21], -v[78:79]
	v_fma_f64 v[64:65], v[64:65], v[24:25], -v[80:81]
	;; [unrolled: 1-line block ×4, first 2 shown]
	v_fma_f64 v[12:13], v[12:13], v[20:21], v[22:23]
	v_fma_f64 v[4:5], v[4:5], v[24:25], v[26:27]
	;; [unrolled: 1-line block ×6, first 2 shown]
	v_fma_f64 v[6:7], v[66:67], v[40:41], -v[6:7]
	v_fma_f64 v[10:11], v[74:75], v[48:49], -v[10:11]
	;; [unrolled: 1-line block ×4, first 2 shown]
	v_fma_f64 v[16:17], v[16:17], v[28:29], v[30:31]
	v_fma_f64 v[8:9], v[8:9], v[32:33], v[34:35]
	;; [unrolled: 1-line block ×3, first 2 shown]
	v_fma_f64 v[2:3], v[58:59], v[52:53], -v[2:3]
	v_add_f64 v[30:31], v[60:61], -v[64:65]
	v_add_f64 v[32:33], v[68:69], -v[72:73]
	v_add_f64 v[34:35], v[64:65], v[72:73]
	v_add_f64 v[40:41], v[20:21], -v[22:23]
	v_add_f64 v[42:43], v[24:25], -v[26:27]
	v_add_f64 v[46:47], v[22:23], v[26:27]
	v_add_f64 v[54:55], v[6:7], v[10:11]
	;; [unrolled: 1-line block ×3, first 2 shown]
	v_add_f64 v[48:49], v[14:15], -v[18:19]
	v_add_f64 v[50:51], v[14:15], -v[6:7]
	;; [unrolled: 1-line block ×6, first 2 shown]
	v_add_f64 v[74:75], v[60:61], v[68:69]
	v_add_f64 v[82:83], v[20:21], v[24:25]
	v_add_f64 v[84:85], v[6:7], -v[14:15]
	v_add_f64 v[86:87], v[10:11], -v[18:19]
	v_add_f64 v[14:15], v[14:15], v[2:3]
	v_add_f64 v[30:31], v[30:31], v[32:33]
	v_fma_f64 v[32:33], v[34:35], -0.5, v[56:57]
	v_add_f64 v[34:35], v[40:41], v[42:43]
	v_fma_f64 v[40:41], v[46:47], -0.5, v[28:29]
	v_fma_f64 v[46:47], v[54:55], -0.5, v[2:3]
	;; [unrolled: 1-line block ×3, first 2 shown]
	v_add_f64 v[44:45], v[6:7], -v[10:11]
	v_add_f64 v[58:59], v[20:21], -v[24:25]
	;; [unrolled: 1-line block ×4, first 2 shown]
	v_add_f64 v[92:93], v[60:61], v[56:57]
	v_add_f64 v[42:43], v[50:51], v[52:53]
	;; [unrolled: 1-line block ×3, first 2 shown]
	v_fma_f64 v[52:53], v[74:75], -0.5, v[56:57]
	v_fma_f64 v[56:57], v[82:83], -0.5, v[28:29]
	v_add_f64 v[66:67], v[84:85], v[86:87]
	v_fma_f64 v[84:85], v[62:63], s[16:17], v[2:3]
	v_fma_f64 v[2:3], v[62:63], s[0:1], v[2:3]
	v_add_f64 v[38:39], v[4:5], -v[8:9]
	v_add_f64 v[98:99], v[64:65], -v[72:73]
	v_add_f64 v[54:55], v[78:79], v[80:81]
	v_add_f64 v[64:65], v[64:65], v[92:93]
	v_fma_f64 v[78:79], v[58:59], s[0:1], v[46:47]
	v_fma_f64 v[82:83], v[44:45], s[0:1], v[56:57]
	;; [unrolled: 1-line block ×5, first 2 shown]
	v_add_f64 v[101:102], v[4:5], v[8:9]
	v_add_f64 v[36:37], v[12:13], -v[16:17]
	v_fma_f64 v[74:75], v[48:49], s[16:17], v[40:41]
	v_fma_f64 v[80:81], v[38:39], s[16:17], v[52:53]
	;; [unrolled: 1-line block ×4, first 2 shown]
	v_add_f64 v[64:65], v[72:73], v[64:65]
	v_fma_f64 v[72:73], v[62:63], s[6:7], v[78:79]
	v_fma_f64 v[82:83], v[48:49], s[14:15], v[82:83]
	;; [unrolled: 1-line block ×5, first 2 shown]
	v_add_f64 v[60:61], v[60:61], -v[68:69]
	v_add_f64 v[6:7], v[6:7], v[14:15]
	v_fma_f64 v[14:15], v[101:102], -0.5, v[0:1]
	v_add_f64 v[103:104], v[12:13], v[16:17]
	v_fma_f64 v[70:71], v[36:37], s[0:1], v[32:33]
	v_fma_f64 v[32:33], v[36:37], s[16:17], v[32:33]
	;; [unrolled: 1-line block ×6, first 2 shown]
	v_mul_f64 v[54:55], v[62:63], s[8:9]
	v_fma_f64 v[52:53], v[42:43], s[8:9], v[72:73]
	v_add_f64 v[10:11], v[10:11], v[6:7]
	v_fma_f64 v[72:73], v[60:61], s[16:17], v[14:15]
	v_add_f64 v[94:95], v[12:13], -v[4:5]
	v_add_f64 v[96:97], v[16:17], -v[8:9]
	v_fma_f64 v[78:79], v[58:59], s[6:7], v[84:85]
	v_fma_f64 v[70:71], v[38:39], s[6:7], v[70:71]
	;; [unrolled: 1-line block ×8, first 2 shown]
	v_add_f64 v[54:55], v[68:69], v[64:65]
	v_fma_f64 v[64:65], v[103:104], -0.5, v[0:1]
	v_fma_f64 v[68:69], v[98:99], s[14:15], v[72:73]
	v_add_f64 v[72:73], v[18:19], v[10:11]
	v_add_f64 v[18:19], v[4:5], -v[12:13]
	v_add_f64 v[0:1], v[0:1], v[12:13]
	v_add_f64 v[12:13], v[20:21], v[28:29]
	v_fma_f64 v[40:41], v[44:45], s[6:7], v[40:41]
	v_fma_f64 v[58:59], v[66:67], s[8:9], v[78:79]
	;; [unrolled: 1-line block ×3, first 2 shown]
	v_mul_f64 v[2:3], v[52:53], s[22:23]
	v_fma_f64 v[44:45], v[30:31], s[8:9], v[70:71]
	v_fma_f64 v[32:33], v[30:31], s[8:9], v[32:33]
	v_add_f64 v[30:31], v[94:95], v[96:97]
	v_mul_f64 v[10:11], v[52:53], s[6:7]
	v_add_f64 v[52:53], v[8:9], -v[16:17]
	v_fma_f64 v[20:21], v[98:99], s[0:1], v[64:65]
	v_add_f64 v[0:1], v[0:1], v[4:5]
	v_add_f64 v[4:5], v[22:23], v[12:13]
	v_fma_f64 v[34:35], v[34:35], s[8:9], v[40:41]
	v_mul_f64 v[40:41], v[42:43], s[18:19]
	v_fma_f64 v[64:65], v[98:99], s[16:17], v[64:65]
	v_fma_f64 v[28:29], v[30:31], s[8:9], v[68:69]
	;; [unrolled: 1-line block ×4, first 2 shown]
	v_add_f64 v[14:15], v[18:19], v[52:53]
	v_fma_f64 v[12:13], v[60:61], s[14:15], v[20:21]
	v_mul_f64 v[18:19], v[58:59], s[0:1]
	v_add_f64 v[0:1], v[0:1], v[8:9]
	v_add_f64 v[4:5], v[26:27], v[4:5]
	v_mul_f64 v[66:67], v[58:59], s[20:21]
	v_fma_f64 v[70:71], v[38:39], s[14:15], v[2:3]
	v_fma_f64 v[40:41], v[34:35], s[14:15], v[40:41]
	;; [unrolled: 1-line block ×3, first 2 shown]
	v_mul_f64 v[38:39], v[42:43], s[6:7]
	v_mul_f64 v[22:23], v[62:63], s[0:1]
	v_fma_f64 v[42:43], v[14:15], s[8:9], v[12:13]
	v_fma_f64 v[52:53], v[56:57], s[20:21], v[18:19]
	;; [unrolled: 1-line block ×3, first 2 shown]
	v_add_f64 v[62:63], v[16:17], v[0:1]
	v_add_f64 v[64:65], v[24:25], v[4:5]
	v_fma_f64 v[66:67], v[56:57], s[16:17], v[66:67]
	v_fma_f64 v[56:57], v[14:15], s[8:9], v[20:21]
	;; [unrolled: 1-line block ×3, first 2 shown]
	v_add_f64 v[14:15], v[32:33], -v[40:41]
	v_add_f64 v[34:35], v[32:33], v[40:41]
	v_mad_u64_u32 v[40:41], s[0:1], s2, v100, 0
	v_fma_f64 v[48:49], v[48:49], s[8:9], v[22:23]
	v_add_f64 v[0:1], v[28:29], -v[68:69]
	v_add_f64 v[20:21], v[28:29], v[68:69]
	v_mov_b32_e32 v28, v41
	v_add_f64 v[4:5], v[42:43], -v[52:53]
	v_add_f64 v[24:25], v[42:43], v[52:53]
	v_mad_u64_u32 v[41:42], s[0:1], s3, v100, v[28:29]
	v_lshlrev_b64 v[42:43], 4, v[76:77]
	v_fma_f64 v[58:59], v[30:31], s[8:9], v[10:11]
	v_add_f64 v[10:11], v[36:37], -v[50:51]
	v_add_f64 v[30:31], v[36:37], v[50:51]
	v_add_f64 v[38:39], v[54:55], v[72:73]
	;; [unrolled: 1-line block ×3, first 2 shown]
	v_add_f64 v[2:3], v[44:45], -v[70:71]
	v_add_f64 v[6:7], v[46:47], -v[66:67]
	v_add_f64 v[22:23], v[44:45], v[70:71]
	v_add_f64 v[26:27], v[46:47], v[66:67]
	v_mov_b32_e32 v44, s11
	v_add_co_u32_e32 v46, vcc, s10, v42
	v_add_f64 v[8:9], v[56:57], -v[48:49]
	v_add_f64 v[28:29], v[56:57], v[48:49]
	v_addc_co_u32_e32 v47, vcc, v44, v43, vcc
	v_lshlrev_b64 v[42:43], 4, v[88:89]
	v_add_u32_e32 v48, 0xaa, v100
	v_mad_u64_u32 v[44:45], s[0:1], s2, v48, 0
	v_add_co_u32_e32 v46, vcc, v46, v42
	v_lshlrev_b64 v[40:41], 4, v[40:41]
	v_addc_co_u32_e32 v47, vcc, v47, v43, vcc
	v_add_co_u32_e32 v40, vcc, v46, v40
	v_mov_b32_e32 v42, v45
	v_addc_co_u32_e32 v41, vcc, v47, v41, vcc
	v_mad_u64_u32 v[42:43], s[0:1], s3, v48, v[42:43]
	global_store_dwordx4 v[40:41], v[36:39], off
	v_add_u32_e32 v40, 0x154, v100
	v_add_f64 v[32:33], v[58:59], v[60:61]
	v_mad_u64_u32 v[38:39], s[0:1], s2, v40, 0
	v_mov_b32_e32 v45, v42
	v_lshlrev_b64 v[36:37], 4, v[44:45]
	v_mad_u64_u32 v[39:40], s[0:1], s3, v40, v[39:40]
	v_add_co_u32_e32 v36, vcc, v46, v36
	v_add_u32_e32 v42, 0x1fe, v100
	v_addc_co_u32_e32 v37, vcc, v47, v37, vcc
	v_mad_u64_u32 v[40:41], s[0:1], s2, v42, 0
	global_store_dwordx4 v[36:37], v[32:35], off
	v_add_f64 v[18:19], v[54:55], -v[72:73]
	v_lshlrev_b64 v[32:33], 4, v[38:39]
	v_mov_b32_e32 v34, v41
	v_add_co_u32_e32 v32, vcc, v46, v32
	v_addc_co_u32_e32 v33, vcc, v47, v33, vcc
	v_mad_u64_u32 v[34:35], s[0:1], s3, v42, v[34:35]
	global_store_dwordx4 v[32:33], v[28:31], off
	v_add_u32_e32 v32, 0x2a8, v100
	v_mad_u64_u32 v[30:31], s[0:1], s2, v32, 0
	v_mov_b32_e32 v41, v34
	v_lshlrev_b64 v[28:29], 4, v[40:41]
	v_mad_u64_u32 v[31:32], s[0:1], s3, v32, v[31:32]
	v_add_co_u32_e32 v28, vcc, v46, v28
	v_add_u32_e32 v34, 0x352, v100
	v_addc_co_u32_e32 v29, vcc, v47, v29, vcc
	v_mad_u64_u32 v[32:33], s[0:1], s2, v34, 0
	global_store_dwordx4 v[28:29], v[24:27], off
	v_add_f64 v[16:17], v[62:63], -v[64:65]
	v_lshlrev_b64 v[24:25], 4, v[30:31]
	v_mov_b32_e32 v26, v33
	v_add_co_u32_e32 v24, vcc, v46, v24
	v_addc_co_u32_e32 v25, vcc, v47, v25, vcc
	v_mad_u64_u32 v[26:27], s[0:1], s3, v34, v[26:27]
	global_store_dwordx4 v[24:25], v[20:23], off
	v_add_u32_e32 v24, 0x3fc, v100
	v_mad_u64_u32 v[22:23], s[0:1], s2, v24, 0
	v_mov_b32_e32 v33, v26
	v_add_f64 v[12:13], v[58:59], -v[60:61]
	v_lshlrev_b64 v[20:21], 4, v[32:33]
	v_mad_u64_u32 v[23:24], s[0:1], s3, v24, v[23:24]
	v_add_co_u32_e32 v20, vcc, v46, v20
	v_addc_co_u32_e32 v21, vcc, v47, v21, vcc
	v_add_u32_e32 v26, 0x4a6, v100
	v_mad_u64_u32 v[24:25], s[0:1], s2, v26, 0
	global_store_dwordx4 v[20:21], v[16:19], off
	s_nop 0
	v_lshlrev_b64 v[16:17], 4, v[22:23]
	v_mov_b32_e32 v18, v25
	v_add_co_u32_e32 v16, vcc, v46, v16
	v_addc_co_u32_e32 v17, vcc, v47, v17, vcc
	global_store_dwordx4 v[16:17], v[12:15], off
	v_add_u32_e32 v16, 0x550, v100
	v_mad_u64_u32 v[18:19], s[0:1], s3, v26, v[18:19]
	v_mad_u64_u32 v[14:15], s[0:1], s2, v16, 0
	v_mov_b32_e32 v25, v18
	v_add_u32_e32 v18, 0x5fa, v100
	v_mad_u64_u32 v[15:16], s[0:1], s3, v16, v[15:16]
	v_lshlrev_b64 v[12:13], 4, v[24:25]
	v_mad_u64_u32 v[16:17], s[0:1], s2, v18, 0
	v_add_co_u32_e32 v12, vcc, v46, v12
	v_addc_co_u32_e32 v13, vcc, v47, v13, vcc
	global_store_dwordx4 v[12:13], v[8:11], off
	s_nop 0
	v_mov_b32_e32 v10, v17
	v_mad_u64_u32 v[10:11], s[0:1], s3, v18, v[10:11]
	v_lshlrev_b64 v[8:9], 4, v[14:15]
	v_add_co_u32_e32 v8, vcc, v46, v8
	v_addc_co_u32_e32 v9, vcc, v47, v9, vcc
	v_mov_b32_e32 v17, v10
	global_store_dwordx4 v[8:9], v[4:7], off
	s_nop 0
	v_lshlrev_b64 v[4:5], 4, v[16:17]
	v_add_co_u32_e32 v4, vcc, v46, v4
	v_addc_co_u32_e32 v5, vcc, v47, v5, vcc
	global_store_dwordx4 v[4:5], v[0:3], off
.LBB0_19:
	s_endpgm
	.section	.rodata,"a",@progbits
	.p2align	6, 0x0
	.amdhsa_kernel fft_rtc_back_len1700_factors_17_10_10_wgs_170_tpt_170_halfLds_dp_op_CI_CI_sbrr_dirReg
		.amdhsa_group_segment_fixed_size 0
		.amdhsa_private_segment_fixed_size 0
		.amdhsa_kernarg_size 104
		.amdhsa_user_sgpr_count 6
		.amdhsa_user_sgpr_private_segment_buffer 1
		.amdhsa_user_sgpr_dispatch_ptr 0
		.amdhsa_user_sgpr_queue_ptr 0
		.amdhsa_user_sgpr_kernarg_segment_ptr 1
		.amdhsa_user_sgpr_dispatch_id 0
		.amdhsa_user_sgpr_flat_scratch_init 0
		.amdhsa_user_sgpr_private_segment_size 0
		.amdhsa_uses_dynamic_stack 0
		.amdhsa_system_sgpr_private_segment_wavefront_offset 0
		.amdhsa_system_sgpr_workgroup_id_x 1
		.amdhsa_system_sgpr_workgroup_id_y 0
		.amdhsa_system_sgpr_workgroup_id_z 0
		.amdhsa_system_sgpr_workgroup_info 0
		.amdhsa_system_vgpr_workitem_id 0
		.amdhsa_next_free_vgpr 239
		.amdhsa_next_free_sgpr 62
		.amdhsa_reserve_vcc 1
		.amdhsa_reserve_flat_scratch 0
		.amdhsa_float_round_mode_32 0
		.amdhsa_float_round_mode_16_64 0
		.amdhsa_float_denorm_mode_32 3
		.amdhsa_float_denorm_mode_16_64 3
		.amdhsa_dx10_clamp 1
		.amdhsa_ieee_mode 1
		.amdhsa_fp16_overflow 0
		.amdhsa_exception_fp_ieee_invalid_op 0
		.amdhsa_exception_fp_denorm_src 0
		.amdhsa_exception_fp_ieee_div_zero 0
		.amdhsa_exception_fp_ieee_overflow 0
		.amdhsa_exception_fp_ieee_underflow 0
		.amdhsa_exception_fp_ieee_inexact 0
		.amdhsa_exception_int_div_zero 0
	.end_amdhsa_kernel
	.text
.Lfunc_end0:
	.size	fft_rtc_back_len1700_factors_17_10_10_wgs_170_tpt_170_halfLds_dp_op_CI_CI_sbrr_dirReg, .Lfunc_end0-fft_rtc_back_len1700_factors_17_10_10_wgs_170_tpt_170_halfLds_dp_op_CI_CI_sbrr_dirReg
                                        ; -- End function
	.section	.AMDGPU.csdata,"",@progbits
; Kernel info:
; codeLenInByte = 13212
; NumSgprs: 66
; NumVgprs: 239
; ScratchSize: 0
; MemoryBound: 1
; FloatMode: 240
; IeeeMode: 1
; LDSByteSize: 0 bytes/workgroup (compile time only)
; SGPRBlocks: 8
; VGPRBlocks: 59
; NumSGPRsForWavesPerEU: 66
; NumVGPRsForWavesPerEU: 239
; Occupancy: 1
; WaveLimiterHint : 1
; COMPUTE_PGM_RSRC2:SCRATCH_EN: 0
; COMPUTE_PGM_RSRC2:USER_SGPR: 6
; COMPUTE_PGM_RSRC2:TRAP_HANDLER: 0
; COMPUTE_PGM_RSRC2:TGID_X_EN: 1
; COMPUTE_PGM_RSRC2:TGID_Y_EN: 0
; COMPUTE_PGM_RSRC2:TGID_Z_EN: 0
; COMPUTE_PGM_RSRC2:TIDIG_COMP_CNT: 0
	.type	__hip_cuid_91b6c7beeb7bb27e,@object ; @__hip_cuid_91b6c7beeb7bb27e
	.section	.bss,"aw",@nobits
	.globl	__hip_cuid_91b6c7beeb7bb27e
__hip_cuid_91b6c7beeb7bb27e:
	.byte	0                               ; 0x0
	.size	__hip_cuid_91b6c7beeb7bb27e, 1

	.ident	"AMD clang version 19.0.0git (https://github.com/RadeonOpenCompute/llvm-project roc-6.4.0 25133 c7fe45cf4b819c5991fe208aaa96edf142730f1d)"
	.section	".note.GNU-stack","",@progbits
	.addrsig
	.addrsig_sym __hip_cuid_91b6c7beeb7bb27e
	.amdgpu_metadata
---
amdhsa.kernels:
  - .args:
      - .actual_access:  read_only
        .address_space:  global
        .offset:         0
        .size:           8
        .value_kind:     global_buffer
      - .offset:         8
        .size:           8
        .value_kind:     by_value
      - .actual_access:  read_only
        .address_space:  global
        .offset:         16
        .size:           8
        .value_kind:     global_buffer
      - .actual_access:  read_only
        .address_space:  global
        .offset:         24
        .size:           8
        .value_kind:     global_buffer
      - .actual_access:  read_only
        .address_space:  global
        .offset:         32
        .size:           8
        .value_kind:     global_buffer
      - .offset:         40
        .size:           8
        .value_kind:     by_value
      - .actual_access:  read_only
        .address_space:  global
        .offset:         48
        .size:           8
        .value_kind:     global_buffer
      - .actual_access:  read_only
        .address_space:  global
        .offset:         56
        .size:           8
        .value_kind:     global_buffer
      - .offset:         64
        .size:           4
        .value_kind:     by_value
      - .actual_access:  read_only
        .address_space:  global
        .offset:         72
        .size:           8
        .value_kind:     global_buffer
      - .actual_access:  read_only
        .address_space:  global
        .offset:         80
        .size:           8
        .value_kind:     global_buffer
      - .actual_access:  read_only
        .address_space:  global
        .offset:         88
        .size:           8
        .value_kind:     global_buffer
      - .actual_access:  write_only
        .address_space:  global
        .offset:         96
        .size:           8
        .value_kind:     global_buffer
    .group_segment_fixed_size: 0
    .kernarg_segment_align: 8
    .kernarg_segment_size: 104
    .language:       OpenCL C
    .language_version:
      - 2
      - 0
    .max_flat_workgroup_size: 170
    .name:           fft_rtc_back_len1700_factors_17_10_10_wgs_170_tpt_170_halfLds_dp_op_CI_CI_sbrr_dirReg
    .private_segment_fixed_size: 0
    .sgpr_count:     66
    .sgpr_spill_count: 0
    .symbol:         fft_rtc_back_len1700_factors_17_10_10_wgs_170_tpt_170_halfLds_dp_op_CI_CI_sbrr_dirReg.kd
    .uniform_work_group_size: 1
    .uses_dynamic_stack: false
    .vgpr_count:     239
    .vgpr_spill_count: 0
    .wavefront_size: 64
amdhsa.target:   amdgcn-amd-amdhsa--gfx906
amdhsa.version:
  - 1
  - 2
...

	.end_amdgpu_metadata
